;; amdgpu-corpus repo=ROCm/rocFFT kind=compiled arch=gfx906 opt=O3
	.text
	.amdgcn_target "amdgcn-amd-amdhsa--gfx906"
	.amdhsa_code_object_version 6
	.protected	fft_rtc_back_len1690_factors_13_10_13_wgs_169_tpt_169_dp_op_CI_CI_unitstride_sbrr_R2C_dirReg ; -- Begin function fft_rtc_back_len1690_factors_13_10_13_wgs_169_tpt_169_dp_op_CI_CI_unitstride_sbrr_R2C_dirReg
	.globl	fft_rtc_back_len1690_factors_13_10_13_wgs_169_tpt_169_dp_op_CI_CI_unitstride_sbrr_R2C_dirReg
	.p2align	8
	.type	fft_rtc_back_len1690_factors_13_10_13_wgs_169_tpt_169_dp_op_CI_CI_unitstride_sbrr_R2C_dirReg,@function
fft_rtc_back_len1690_factors_13_10_13_wgs_169_tpt_169_dp_op_CI_CI_unitstride_sbrr_R2C_dirReg: ; @fft_rtc_back_len1690_factors_13_10_13_wgs_169_tpt_169_dp_op_CI_CI_unitstride_sbrr_R2C_dirReg
; %bb.0:
	s_load_dwordx4 s[8:11], s[4:5], 0x58
	s_load_dwordx4 s[12:15], s[4:5], 0x0
	;; [unrolled: 1-line block ×3, first 2 shown]
	s_mov_b64 s[46:47], s[2:3]
	s_mov_b64 s[44:45], s[0:1]
	v_mul_u32_u24_e32 v1, 0x184, v0
	s_waitcnt lgkmcnt(0)
	v_cmp_lt_u64_e64 s[0:1], s[14:15], 2
	s_add_u32 s44, s44, s7
	v_add_u32_sdwa v5, s6, v1 dst_sel:DWORD dst_unused:UNUSED_PAD src0_sel:DWORD src1_sel:WORD_1
	v_mov_b32_e32 v3, 0
	v_mov_b32_e32 v1, 0
	s_addc_u32 s45, s45, 0
	v_mov_b32_e32 v6, v3
	s_and_b64 vcc, exec, s[0:1]
	v_mov_b32_e32 v2, 0
	s_cbranch_vccnz .LBB0_8
; %bb.1:
	s_load_dwordx2 s[0:1], s[4:5], 0x10
	s_add_u32 s2, s18, 8
	s_addc_u32 s3, s19, 0
	s_add_u32 s6, s16, 8
	v_mov_b32_e32 v1, 0
	s_addc_u32 s7, s17, 0
	v_mov_b32_e32 v2, 0
	s_waitcnt lgkmcnt(0)
	s_add_u32 s20, s0, 8
	v_mov_b32_e32 v65, v2
	s_addc_u32 s21, s1, 0
	s_mov_b64 s[22:23], 1
	v_mov_b32_e32 v64, v1
.LBB0_2:                                ; =>This Inner Loop Header: Depth=1
	s_load_dwordx2 s[24:25], s[20:21], 0x0
                                        ; implicit-def: $vgpr68_vgpr69
	s_waitcnt lgkmcnt(0)
	v_or_b32_e32 v4, s25, v6
	v_cmp_ne_u64_e32 vcc, 0, v[3:4]
	s_and_saveexec_b64 s[0:1], vcc
	s_xor_b64 s[26:27], exec, s[0:1]
	s_cbranch_execz .LBB0_4
; %bb.3:                                ;   in Loop: Header=BB0_2 Depth=1
	v_cvt_f32_u32_e32 v4, s24
	v_cvt_f32_u32_e32 v7, s25
	s_sub_u32 s0, 0, s24
	s_subb_u32 s1, 0, s25
	v_mac_f32_e32 v4, 0x4f800000, v7
	v_rcp_f32_e32 v4, v4
	v_mul_f32_e32 v4, 0x5f7ffffc, v4
	v_mul_f32_e32 v7, 0x2f800000, v4
	v_trunc_f32_e32 v7, v7
	v_mac_f32_e32 v4, 0xcf800000, v7
	v_cvt_u32_f32_e32 v7, v7
	v_cvt_u32_f32_e32 v4, v4
	v_mul_lo_u32 v8, s0, v7
	v_mul_hi_u32 v9, s0, v4
	v_mul_lo_u32 v11, s1, v4
	v_mul_lo_u32 v10, s0, v4
	v_add_u32_e32 v8, v9, v8
	v_add_u32_e32 v8, v8, v11
	v_mul_hi_u32 v9, v4, v10
	v_mul_lo_u32 v11, v4, v8
	v_mul_hi_u32 v13, v4, v8
	v_mul_hi_u32 v12, v7, v10
	v_mul_lo_u32 v10, v7, v10
	v_mul_hi_u32 v14, v7, v8
	v_add_co_u32_e32 v9, vcc, v9, v11
	v_addc_co_u32_e32 v11, vcc, 0, v13, vcc
	v_mul_lo_u32 v8, v7, v8
	v_add_co_u32_e32 v9, vcc, v9, v10
	v_addc_co_u32_e32 v9, vcc, v11, v12, vcc
	v_addc_co_u32_e32 v10, vcc, 0, v14, vcc
	v_add_co_u32_e32 v8, vcc, v9, v8
	v_addc_co_u32_e32 v9, vcc, 0, v10, vcc
	v_add_co_u32_e32 v4, vcc, v4, v8
	v_addc_co_u32_e32 v7, vcc, v7, v9, vcc
	v_mul_lo_u32 v8, s0, v7
	v_mul_hi_u32 v9, s0, v4
	v_mul_lo_u32 v10, s1, v4
	v_mul_lo_u32 v11, s0, v4
	v_add_u32_e32 v8, v9, v8
	v_add_u32_e32 v8, v8, v10
	v_mul_lo_u32 v12, v4, v8
	v_mul_hi_u32 v13, v4, v11
	v_mul_hi_u32 v14, v4, v8
	;; [unrolled: 1-line block ×3, first 2 shown]
	v_mul_lo_u32 v11, v7, v11
	v_mul_hi_u32 v9, v7, v8
	v_add_co_u32_e32 v12, vcc, v13, v12
	v_addc_co_u32_e32 v13, vcc, 0, v14, vcc
	v_mul_lo_u32 v8, v7, v8
	v_add_co_u32_e32 v11, vcc, v12, v11
	v_addc_co_u32_e32 v10, vcc, v13, v10, vcc
	v_addc_co_u32_e32 v9, vcc, 0, v9, vcc
	v_add_co_u32_e32 v8, vcc, v10, v8
	v_addc_co_u32_e32 v9, vcc, 0, v9, vcc
	v_add_co_u32_e32 v4, vcc, v4, v8
	v_addc_co_u32_e32 v9, vcc, v7, v9, vcc
	v_mad_u64_u32 v[7:8], s[0:1], v5, v9, 0
	v_mul_hi_u32 v10, v5, v4
	v_add_co_u32_e32 v11, vcc, v10, v7
	v_addc_co_u32_e32 v12, vcc, 0, v8, vcc
	v_mad_u64_u32 v[7:8], s[0:1], v6, v4, 0
	v_mad_u64_u32 v[9:10], s[0:1], v6, v9, 0
	v_add_co_u32_e32 v4, vcc, v11, v7
	v_addc_co_u32_e32 v4, vcc, v12, v8, vcc
	v_addc_co_u32_e32 v7, vcc, 0, v10, vcc
	v_add_co_u32_e32 v4, vcc, v4, v9
	v_addc_co_u32_e32 v9, vcc, 0, v7, vcc
	v_mul_lo_u32 v10, s25, v4
	v_mul_lo_u32 v11, s24, v9
	v_mad_u64_u32 v[7:8], s[0:1], s24, v4, 0
	v_add3_u32 v8, v8, v11, v10
	v_sub_u32_e32 v10, v6, v8
	v_mov_b32_e32 v11, s25
	v_sub_co_u32_e32 v7, vcc, v5, v7
	v_subb_co_u32_e64 v10, s[0:1], v10, v11, vcc
	v_subrev_co_u32_e64 v11, s[0:1], s24, v7
	v_subbrev_co_u32_e64 v10, s[0:1], 0, v10, s[0:1]
	v_cmp_le_u32_e64 s[0:1], s25, v10
	v_cndmask_b32_e64 v12, 0, -1, s[0:1]
	v_cmp_le_u32_e64 s[0:1], s24, v11
	v_cndmask_b32_e64 v11, 0, -1, s[0:1]
	v_cmp_eq_u32_e64 s[0:1], s25, v10
	v_cndmask_b32_e64 v10, v12, v11, s[0:1]
	v_add_co_u32_e64 v11, s[0:1], 2, v4
	v_addc_co_u32_e64 v12, s[0:1], 0, v9, s[0:1]
	v_add_co_u32_e64 v13, s[0:1], 1, v4
	v_addc_co_u32_e64 v14, s[0:1], 0, v9, s[0:1]
	v_subb_co_u32_e32 v8, vcc, v6, v8, vcc
	v_cmp_ne_u32_e64 s[0:1], 0, v10
	v_cmp_le_u32_e32 vcc, s25, v8
	v_cndmask_b32_e64 v10, v14, v12, s[0:1]
	v_cndmask_b32_e64 v12, 0, -1, vcc
	v_cmp_le_u32_e32 vcc, s24, v7
	v_cndmask_b32_e64 v7, 0, -1, vcc
	v_cmp_eq_u32_e32 vcc, s25, v8
	v_cndmask_b32_e32 v7, v12, v7, vcc
	v_cmp_ne_u32_e32 vcc, 0, v7
	v_cndmask_b32_e64 v7, v13, v11, s[0:1]
	v_cndmask_b32_e32 v69, v9, v10, vcc
	v_cndmask_b32_e32 v68, v4, v7, vcc
.LBB0_4:                                ;   in Loop: Header=BB0_2 Depth=1
	s_andn2_saveexec_b64 s[0:1], s[26:27]
	s_cbranch_execz .LBB0_6
; %bb.5:                                ;   in Loop: Header=BB0_2 Depth=1
	v_cvt_f32_u32_e32 v4, s24
	s_sub_i32 s26, 0, s24
	v_mov_b32_e32 v69, v3
	v_rcp_iflag_f32_e32 v4, v4
	v_mul_f32_e32 v4, 0x4f7ffffe, v4
	v_cvt_u32_f32_e32 v4, v4
	v_mul_lo_u32 v7, s26, v4
	v_mul_hi_u32 v7, v4, v7
	v_add_u32_e32 v4, v4, v7
	v_mul_hi_u32 v4, v5, v4
	v_mul_lo_u32 v7, v4, s24
	v_add_u32_e32 v8, 1, v4
	v_sub_u32_e32 v7, v5, v7
	v_subrev_u32_e32 v9, s24, v7
	v_cmp_le_u32_e32 vcc, s24, v7
	v_cndmask_b32_e32 v7, v7, v9, vcc
	v_cndmask_b32_e32 v4, v4, v8, vcc
	v_add_u32_e32 v8, 1, v4
	v_cmp_le_u32_e32 vcc, s24, v7
	v_cndmask_b32_e32 v68, v4, v8, vcc
.LBB0_6:                                ;   in Loop: Header=BB0_2 Depth=1
	s_or_b64 exec, exec, s[0:1]
	v_mul_lo_u32 v4, v69, s24
	v_mul_lo_u32 v9, v68, s25
	v_mad_u64_u32 v[7:8], s[0:1], v68, s24, 0
	s_load_dwordx2 s[0:1], s[6:7], 0x0
	s_load_dwordx2 s[24:25], s[2:3], 0x0
	v_add3_u32 v4, v8, v9, v4
	v_sub_co_u32_e32 v5, vcc, v5, v7
	v_subb_co_u32_e32 v4, vcc, v6, v4, vcc
	s_waitcnt lgkmcnt(0)
	v_mul_lo_u32 v6, s0, v4
	v_mul_lo_u32 v7, s1, v5
	v_mad_u64_u32 v[1:2], s[0:1], s0, v5, v[1:2]
	v_mul_lo_u32 v4, s24, v4
	v_mul_lo_u32 v8, s25, v5
	v_mad_u64_u32 v[64:65], s[0:1], s24, v5, v[64:65]
	s_add_u32 s22, s22, 1
	s_addc_u32 s23, s23, 0
	s_add_u32 s2, s2, 8
	v_add3_u32 v65, v8, v65, v4
	s_addc_u32 s3, s3, 0
	v_mov_b32_e32 v4, s14
	s_add_u32 s6, s6, 8
	v_mov_b32_e32 v5, s15
	s_addc_u32 s7, s7, 0
	v_cmp_ge_u64_e32 vcc, s[22:23], v[4:5]
	s_add_u32 s20, s20, 8
	v_add3_u32 v2, v7, v2, v6
	s_addc_u32 s21, s21, 0
	s_cbranch_vccnz .LBB0_9
; %bb.7:                                ;   in Loop: Header=BB0_2 Depth=1
	v_mov_b32_e32 v5, v68
	v_mov_b32_e32 v6, v69
	s_branch .LBB0_2
.LBB0_8:
	v_mov_b32_e32 v65, v2
	v_mov_b32_e32 v69, v6
	;; [unrolled: 1-line block ×4, first 2 shown]
.LBB0_9:
	s_load_dwordx2 s[4:5], s[4:5], 0x28
	s_lshl_b64 s[6:7], s[14:15], 3
	s_add_u32 s2, s18, s6
	s_addc_u32 s3, s19, s7
                                        ; implicit-def: $vgpr66
	s_waitcnt lgkmcnt(0)
	v_cmp_gt_u64_e64 s[0:1], s[4:5], v[68:69]
	v_cmp_le_u64_e32 vcc, s[4:5], v[68:69]
	s_and_saveexec_b64 s[4:5], vcc
	s_xor_b64 s[4:5], exec, s[4:5]
; %bb.10:
	s_mov_b32 s14, 0x183c978
	v_mul_hi_u32 v1, v0, s14
	v_mul_u32_u24_e32 v1, 0xa9, v1
	v_sub_u32_e32 v66, v0, v1
                                        ; implicit-def: $vgpr0
                                        ; implicit-def: $vgpr1_vgpr2
; %bb.11:
	s_andn2_saveexec_b64 s[4:5], s[4:5]
	s_cbranch_execz .LBB0_13
; %bb.12:
	s_add_u32 s6, s16, s6
	s_addc_u32 s7, s17, s7
	s_load_dwordx2 s[6:7], s[6:7], 0x0
	s_mov_b32 s14, 0x183c978
	v_mul_hi_u32 v5, v0, s14
	s_waitcnt lgkmcnt(0)
	v_mul_lo_u32 v6, s7, v68
	v_mul_lo_u32 v7, s6, v69
	v_mad_u64_u32 v[3:4], s[6:7], s6, v68, 0
	v_mul_u32_u24_e32 v5, 0xa9, v5
	v_sub_u32_e32 v66, v0, v5
	v_add3_u32 v4, v4, v7, v6
	v_lshlrev_b64 v[3:4], 4, v[3:4]
	v_mov_b32_e32 v0, s9
	v_add_co_u32_e32 v3, vcc, s8, v3
	v_addc_co_u32_e32 v4, vcc, v0, v4, vcc
	v_lshlrev_b64 v[0:1], 4, v[1:2]
	v_lshlrev_b32_e32 v46, 4, v66
	v_add_co_u32_e32 v0, vcc, v3, v0
	v_addc_co_u32_e32 v1, vcc, v4, v1, vcc
	v_add_co_u32_e32 v24, vcc, v0, v46
	v_addc_co_u32_e32 v25, vcc, 0, v1, vcc
	s_movk_i32 s6, 0x1000
	v_add_co_u32_e32 v16, vcc, s6, v24
	v_addc_co_u32_e32 v17, vcc, 0, v25, vcc
	s_movk_i32 s6, 0x2000
	;; [unrolled: 3-line block ×3, first 2 shown]
	v_add_co_u32_e32 v40, vcc, s6, v24
	v_addc_co_u32_e32 v41, vcc, 0, v25, vcc
	v_add_co_u32_e32 v42, vcc, 0x4000, v24
	v_addc_co_u32_e32 v43, vcc, 0, v25, vcc
	v_add_co_u32_e32 v44, vcc, 0x5000, v24
	global_load_dwordx4 v[0:3], v[24:25], off
	global_load_dwordx4 v[4:7], v[24:25], off offset:2704
	global_load_dwordx4 v[8:11], v[16:17], off offset:1312
	;; [unrolled: 1-line block ×3, first 2 shown]
	s_nop 0
	global_load_dwordx4 v[16:19], v[26:27], off offset:2624
	global_load_dwordx4 v[20:23], v[40:41], off offset:1232
	v_addc_co_u32_e32 v45, vcc, 0, v25, vcc
	global_load_dwordx4 v[24:27], v[40:41], off offset:3936
	global_load_dwordx4 v[28:31], v[42:43], off offset:2544
	global_load_dwordx4 v[32:35], v[44:45], off offset:1152
	global_load_dwordx4 v[36:39], v[44:45], off offset:3856
	v_add_u32_e32 v40, 0, v46
	s_waitcnt vmcnt(9)
	ds_write_b128 v40, v[0:3]
	s_waitcnt vmcnt(8)
	ds_write_b128 v40, v[4:7] offset:2704
	s_waitcnt vmcnt(7)
	ds_write_b128 v40, v[8:11] offset:5408
	;; [unrolled: 2-line block ×9, first 2 shown]
.LBB0_13:
	s_or_b64 exec, exec, s[4:5]
	v_lshl_add_u32 v214, v66, 4, 0
	s_waitcnt lgkmcnt(0)
	s_barrier
	ds_read_b128 v[12:15], v214 offset:24960
	ds_read_b128 v[16:19], v214 offset:2080
	ds_read_b128 v[28:31], v214
	ds_read_b128 v[20:23], v214 offset:22880
	ds_read_b128 v[36:39], v214 offset:4160
	s_mov_b32 s42, 0x4267c47c
	s_waitcnt lgkmcnt(3)
	v_add_f64 v[104:105], v[18:19], -v[14:15]
	v_add_f64 v[98:99], v[18:19], v[14:15]
	s_mov_b32 s6, 0xe00740e9
	s_mov_b32 s43, 0xbfddbe06
	;; [unrolled: 1-line block ×3, first 2 shown]
	v_add_f64 v[90:91], v[16:17], v[12:13]
	s_waitcnt lgkmcnt(0)
	v_add_f64 v[112:113], v[38:39], -v[22:23]
	v_add_f64 v[126:127], v[16:17], -v[12:13]
	v_mul_f64 v[204:205], v[104:105], s[42:43]
	v_mul_f64 v[74:75], v[98:99], s[6:7]
	v_add_f64 v[102:103], v[38:39], v[22:23]
	ds_read_b128 v[32:35], v214 offset:6240
	ds_read_b128 v[24:27], v214 offset:20800
	s_mov_b32 s4, 0x1ea71119
	s_mov_b32 s8, 0x42a4c3d2
	;; [unrolled: 1-line block ×4, first 2 shown]
	v_fma_f64 v[0:1], v[90:91], s[6:7], -v[204:205]
	v_add_f64 v[92:93], v[36:37], v[20:21]
	v_mul_f64 v[72:73], v[112:113], s[8:9]
	v_fma_f64 v[2:3], v[126:127], s[42:43], v[74:75]
	v_add_f64 v[128:129], v[36:37], -v[20:21]
	v_mul_f64 v[76:77], v[102:103], s[4:5]
	s_waitcnt lgkmcnt(0)
	v_add_f64 v[116:117], v[34:35], -v[26:27]
	v_add_f64 v[114:115], v[34:35], v[26:27]
	ds_read_b128 v[40:43], v214 offset:18720
	ds_read_b128 v[44:47], v214 offset:8320
	s_mov_b32 s18, 0x66966769
	s_mov_b32 s14, 0xebaa3ed8
	;; [unrolled: 1-line block ×4, first 2 shown]
	v_add_f64 v[0:1], v[28:29], v[0:1]
	v_fma_f64 v[4:5], v[92:93], s[4:5], -v[72:73]
	v_add_f64 v[2:3], v[30:31], v[2:3]
	v_fma_f64 v[6:7], v[128:129], s[8:9], v[76:77]
	v_add_f64 v[108:109], v[32:33], v[24:25]
	v_mul_f64 v[78:79], v[116:117], s[18:19]
	v_add_f64 v[124:125], v[32:33], -v[24:25]
	v_mul_f64 v[80:81], v[114:115], s[14:15]
	s_waitcnt lgkmcnt(0)
	v_add_f64 v[172:173], v[46:47], -v[42:43]
	v_add_f64 v[164:165], v[46:47], v[42:43]
	ds_read_b128 v[48:51], v214 offset:10400
	ds_read_b128 v[52:55], v214 offset:16640
	s_mov_b32 s24, 0xb2365da1
	s_mov_b32 s26, 0x2ef20147
	;; [unrolled: 1-line block ×4, first 2 shown]
	v_add_f64 v[0:1], v[4:5], v[0:1]
	v_add_f64 v[2:3], v[6:7], v[2:3]
	v_fma_f64 v[4:5], v[108:109], s[14:15], -v[78:79]
	v_fma_f64 v[6:7], v[124:125], s[18:19], v[80:81]
	v_add_f64 v[136:137], v[44:45], v[40:41]
	v_mul_f64 v[82:83], v[172:173], s[26:27]
	v_add_f64 v[166:167], v[44:45], -v[40:41]
	v_mul_f64 v[84:85], v[164:165], s[24:25]
	s_waitcnt lgkmcnt(0)
	v_add_f64 v[146:147], v[50:51], -v[54:55]
	v_add_f64 v[160:161], v[50:51], v[54:55]
	s_mov_b32 s20, 0xd0032e0c
	s_mov_b32 s30, 0x24c2f84
	;; [unrolled: 1-line block ×6, first 2 shown]
	v_add_f64 v[0:1], v[4:5], v[0:1]
	v_add_f64 v[2:3], v[6:7], v[2:3]
	v_fma_f64 v[4:5], v[136:137], s[24:25], -v[82:83]
	v_fma_f64 v[6:7], v[166:167], s[26:27], v[84:85]
	v_add_f64 v[138:139], v[48:49], v[52:53]
	v_mul_f64 v[86:87], v[146:147], s[22:23]
	v_add_f64 v[158:159], v[48:49], -v[52:53]
	v_mul_f64 v[88:89], v[160:161], s[20:21]
	v_mul_f64 v[100:101], v[104:105], s[8:9]
	;; [unrolled: 1-line block ×3, first 2 shown]
	v_add_f64 v[0:1], v[4:5], v[0:1]
	v_add_f64 v[2:3], v[6:7], v[2:3]
	v_mul_f64 v[106:107], v[112:113], s[26:27]
	v_fma_f64 v[4:5], v[138:139], s[20:21], -v[86:87]
	v_mul_f64 v[120:121], v[102:103], s[24:25]
	v_fma_f64 v[6:7], v[158:159], s[22:23], v[88:89]
	s_mov_b32 s28, 0x93053d00
	s_mov_b32 s29, 0xbfef11f4
	;; [unrolled: 1-line block ×4, first 2 shown]
	v_fma_f64 v[8:9], v[92:93], s[24:25], -v[106:107]
	v_add_f64 v[0:1], v[4:5], v[0:1]
	v_fma_f64 v[4:5], v[90:91], s[4:5], -v[100:101]
	v_add_f64 v[2:3], v[6:7], v[2:3]
	v_fma_f64 v[6:7], v[126:127], s[8:9], v[148:149]
	v_fma_f64 v[10:11], v[128:129], s[26:27], v[120:121]
	v_mul_f64 v[110:111], v[116:117], s[34:35]
	v_mul_f64 v[122:123], v[114:115], s[28:29]
	;; [unrolled: 1-line block ×4, first 2 shown]
	v_add_f64 v[4:5], v[28:29], v[4:5]
	v_mul_f64 v[118:119], v[172:173], s[30:31]
	v_add_f64 v[6:7], v[30:31], v[6:7]
	v_mul_f64 v[134:135], v[164:165], s[20:21]
	v_mul_f64 v[142:143], v[112:113], s[34:35]
	;; [unrolled: 1-line block ×3, first 2 shown]
	v_fma_f64 v[130:131], v[90:91], s[14:15], -v[140:141]
	v_fma_f64 v[132:133], v[126:127], s[18:19], v[210:211]
	v_add_f64 v[4:5], v[8:9], v[4:5]
	v_fma_f64 v[8:9], v[108:109], s[28:29], -v[110:111]
	v_add_f64 v[6:7], v[10:11], v[6:7]
	v_fma_f64 v[10:11], v[124:125], s[34:35], v[122:123]
	s_mov_b32 s41, 0x3fedeba7
	s_mov_b32 s40, s26
	v_add_f64 v[130:131], v[28:29], v[130:131]
	v_fma_f64 v[150:151], v[92:93], s[28:29], -v[142:143]
	v_add_f64 v[132:133], v[30:31], v[132:133]
	v_add_f64 v[4:5], v[8:9], v[4:5]
	v_fma_f64 v[8:9], v[136:137], s[20:21], -v[118:119]
	v_add_f64 v[6:7], v[10:11], v[6:7]
	v_fma_f64 v[10:11], v[166:167], s[30:31], v[134:135]
	v_fma_f64 v[152:153], v[128:129], s[34:35], v[212:213]
	v_mul_f64 v[144:145], v[116:117], s[40:41]
	v_mul_f64 v[162:163], v[114:115], s[24:25]
	s_mov_b32 s37, 0x3fddbe06
	s_mov_b32 s36, s42
	v_add_f64 v[4:5], v[8:9], v[4:5]
	v_add_f64 v[8:9], v[150:151], v[130:131]
	;; [unrolled: 1-line block ×4, first 2 shown]
	v_fma_f64 v[132:133], v[108:109], s[24:25], -v[144:145]
	v_fma_f64 v[154:155], v[124:125], s[40:41], v[162:163]
	v_mul_f64 v[150:151], v[172:173], s[36:37]
	v_mul_f64 v[170:171], v[164:165], s[6:7]
	ds_read_b128 v[60:63], v214 offset:12480
	ds_read_b128 v[56:59], v214 offset:14560
	s_mov_b32 s39, 0x3fefc445
	s_mov_b32 s38, s18
	v_mul_f64 v[130:131], v[146:147], s[38:39]
	v_mul_f64 v[152:153], v[160:161], s[14:15]
	s_waitcnt lgkmcnt(0)
	v_add_f64 v[196:197], v[62:63], -v[58:59]
	v_add_f64 v[200:201], v[62:63], v[58:59]
	v_add_f64 v[8:9], v[132:133], v[8:9]
	;; [unrolled: 1-line block ×3, first 2 shown]
	v_fma_f64 v[168:169], v[136:137], s[6:7], -v[150:151]
	v_fma_f64 v[176:177], v[166:167], s[36:37], v[170:171]
	v_mul_f64 v[154:155], v[146:147], s[8:9]
	v_mul_f64 v[174:175], v[160:161], s[4:5]
	v_add_f64 v[178:179], v[60:61], v[56:57]
	v_mul_f64 v[94:95], v[196:197], s[34:35]
	v_add_f64 v[198:199], v[60:61], -v[56:57]
	v_mul_f64 v[96:97], v[200:201], s[28:29]
	v_fma_f64 v[184:185], v[138:139], s[14:15], -v[130:131]
	v_fma_f64 v[186:187], v[158:159], s[38:39], v[152:153]
	v_mul_f64 v[132:133], v[196:197], s[36:37]
	v_mul_f64 v[156:157], v[200:201], s[6:7]
	v_add_f64 v[8:9], v[168:169], v[8:9]
	v_add_f64 v[10:11], v[176:177], v[10:11]
	v_fma_f64 v[188:189], v[138:139], s[4:5], -v[154:155]
	v_fma_f64 v[190:191], v[158:159], s[8:9], v[174:175]
	v_mul_f64 v[168:169], v[196:197], s[22:23]
	v_mul_f64 v[176:177], v[200:201], s[20:21]
	v_fma_f64 v[180:181], v[178:179], s[28:29], -v[94:95]
	v_fma_f64 v[182:183], v[198:199], s[34:35], v[96:97]
	v_add_f64 v[4:5], v[184:185], v[4:5]
	v_add_f64 v[6:7], v[186:187], v[6:7]
	v_fma_f64 v[184:185], v[178:179], s[6:7], -v[132:133]
	v_fma_f64 v[186:187], v[198:199], s[36:37], v[156:157]
	v_add_f64 v[188:189], v[188:189], v[8:9]
	v_add_f64 v[190:191], v[190:191], v[10:11]
	v_fma_f64 v[192:193], v[178:179], s[20:21], -v[168:169]
	v_fma_f64 v[194:195], v[198:199], s[22:23], v[176:177]
	v_add_f64 v[8:9], v[180:181], v[0:1]
	v_add_f64 v[10:11], v[182:183], v[2:3]
	v_add_f64 v[4:5], v[184:185], v[4:5]
	v_add_f64 v[6:7], v[186:187], v[6:7]
	s_movk_i32 s16, 0x82
	v_cmp_gt_u32_e32 vcc, s16, v66
	v_add_f64 v[0:1], v[192:193], v[188:189]
	v_add_f64 v[2:3], v[194:195], v[190:191]
	s_barrier
	s_and_saveexec_b64 s[16:17], vcc
	s_cbranch_execz .LBB0_15
; %bb.14:
	v_mul_f64 v[217:218], v[126:127], s[34:35]
	v_mul_f64 v[221:222], v[104:105], s[34:35]
	v_mul_f64 v[225:226], v[128:129], s[36:37]
	v_mul_f64 v[237:238], v[124:125], s[22:23]
	v_mul_f64 v[239:240], v[112:113], s[36:37]
	v_mul_f64 v[192:193], v[126:127], s[42:43]
	s_mov_b32 s43, 0x3fea55e2
	s_mov_b32 s42, s8
	v_fma_f64 v[235:236], v[98:99], s[28:29], v[217:218]
	v_fma_f64 v[243:244], v[90:91], s[28:29], -v[221:222]
	v_fma_f64 v[247:248], v[102:103], s[6:7], v[225:226]
	v_fma_f64 v[217:218], v[98:99], s[28:29], -v[217:218]
	v_fma_f64 v[221:222], v[90:91], s[28:29], v[221:222]
	v_mul_f64 v[223:224], v[166:167], s[42:43]
	v_fma_f64 v[249:250], v[114:115], s[20:21], v[237:238]
	v_fma_f64 v[251:252], v[92:93], s[6:7], -v[239:240]
	v_add_f64 v[235:236], v[30:31], v[235:236]
	v_add_f64 v[243:244], v[28:29], v[243:244]
	v_mul_f64 v[253:254], v[116:117], s[22:23]
	v_fma_f64 v[225:226], v[102:103], s[6:7], -v[225:226]
	v_add_f64 v[217:218], v[30:31], v[217:218]
	v_fma_f64 v[239:240], v[92:93], s[6:7], v[239:240]
	v_add_f64 v[221:222], v[28:29], v[221:222]
	v_mul_f64 v[219:220], v[158:159], s[26:27]
	v_add_f64 v[235:236], v[247:248], v[235:236]
	v_fma_f64 v[245:246], v[164:165], s[4:5], v[223:224]
	v_mul_f64 v[247:248], v[172:173], s[42:43]
	v_add_f64 v[243:244], v[251:252], v[243:244]
	v_fma_f64 v[251:252], v[108:109], s[20:21], -v[253:254]
	v_fma_f64 v[237:238], v[114:115], s[20:21], -v[237:238]
	v_add_f64 v[217:218], v[225:226], v[217:218]
	v_add_f64 v[221:222], v[239:240], v[221:222]
	;; [unrolled: 1-line block ×3, first 2 shown]
	v_fma_f64 v[249:250], v[108:109], s[20:21], v[253:254]
	v_mul_f64 v[215:216], v[198:199], s[38:39]
	v_fma_f64 v[241:242], v[160:161], s[24:25], v[219:220]
	v_mul_f64 v[235:236], v[146:147], s[26:27]
	v_fma_f64 v[239:240], v[136:137], s[4:5], -v[247:248]
	v_add_f64 v[243:244], v[251:252], v[243:244]
	v_fma_f64 v[223:224], v[164:165], s[4:5], -v[223:224]
	v_add_f64 v[217:218], v[237:238], v[217:218]
	v_add_f64 v[225:226], v[245:246], v[225:226]
	v_fma_f64 v[245:246], v[136:137], s[4:5], v[247:248]
	v_add_f64 v[221:222], v[249:250], v[221:222]
	v_fma_f64 v[233:234], v[200:201], s[14:15], v[215:216]
	v_mul_f64 v[237:238], v[196:197], s[38:39]
	v_fma_f64 v[247:248], v[138:139], s[24:25], -v[235:236]
	v_add_f64 v[239:240], v[239:240], v[243:244]
	v_fma_f64 v[219:220], v[160:161], s[24:25], -v[219:220]
	v_add_f64 v[217:218], v[223:224], v[217:218]
	v_add_f64 v[223:224], v[241:242], v[225:226]
	v_fma_f64 v[225:226], v[138:139], s[24:25], v[235:236]
	v_mul_f64 v[235:236], v[126:127], s[22:23]
	v_add_f64 v[221:222], v[245:246], v[221:222]
	v_fma_f64 v[241:242], v[178:179], s[14:15], -v[237:238]
	v_add_f64 v[239:240], v[247:248], v[239:240]
	v_fma_f64 v[243:244], v[200:201], s[14:15], -v[215:216]
	v_add_f64 v[219:220], v[219:220], v[217:218]
	v_fma_f64 v[237:238], v[178:179], s[14:15], v[237:238]
	v_mul_f64 v[245:246], v[128:129], s[38:39]
	v_fma_f64 v[247:248], v[98:99], s[20:21], v[235:236]
	v_add_f64 v[225:226], v[225:226], v[221:222]
	v_add_f64 v[217:218], v[233:234], v[223:224]
	v_mul_f64 v[223:224], v[104:105], s[22:23]
	v_mul_f64 v[70:71], v[108:109], s[14:15]
	v_add_f64 v[215:216], v[241:242], v[239:240]
	v_add_f64 v[221:222], v[243:244], v[219:220]
	v_mul_f64 v[233:234], v[124:125], s[8:9]
	v_fma_f64 v[239:240], v[102:103], s[14:15], v[245:246]
	v_add_f64 v[241:242], v[30:31], v[247:248]
	v_add_f64 v[219:220], v[237:238], v[225:226]
	v_mul_f64 v[225:226], v[112:113], s[38:39]
	v_fma_f64 v[237:238], v[90:91], s[20:21], -v[223:224]
	buffer_store_dword v70, off, s[44:47], 0 offset:8 ; 4-byte Folded Spill
	s_nop 0
	buffer_store_dword v71, off, s[44:47], 0 offset:12 ; 4-byte Folded Spill
	v_mul_f64 v[231:232], v[128:129], s[34:35]
	v_mul_f64 v[206:207], v[124:125], s[34:35]
	;; [unrolled: 1-line block ×3, first 2 shown]
	s_mov_b32 s35, 0x3fcea1e5
	v_fma_f64 v[235:236], v[98:99], s[20:21], -v[235:236]
	v_mul_f64 v[243:244], v[166:167], s[34:35]
	v_fma_f64 v[247:248], v[114:115], s[4:5], v[233:234]
	v_add_f64 v[239:240], v[239:240], v[241:242]
	v_mul_f64 v[241:242], v[116:117], s[8:9]
	v_fma_f64 v[249:250], v[92:93], s[14:15], -v[225:226]
	v_add_f64 v[237:238], v[28:29], v[237:238]
	v_fma_f64 v[245:246], v[102:103], s[14:15], -v[245:246]
	v_add_f64 v[235:236], v[30:31], v[235:236]
	v_fma_f64 v[223:224], v[90:91], s[20:21], v[223:224]
	v_fma_f64 v[253:254], v[164:165], s[28:29], v[243:244]
	v_add_f64 v[239:240], v[247:248], v[239:240]
	v_mul_f64 v[247:248], v[172:173], s[34:35]
	v_fma_f64 v[225:226], v[92:93], s[14:15], v[225:226]
	v_add_f64 v[237:238], v[249:250], v[237:238]
	v_fma_f64 v[249:250], v[108:109], s[4:5], -v[241:242]
	v_add_f64 v[235:236], v[245:246], v[235:236]
	v_add_f64 v[223:224], v[28:29], v[223:224]
	v_fma_f64 v[233:234], v[114:115], s[4:5], -v[233:234]
	v_add_f64 v[239:240], v[253:254], v[239:240]
	v_fma_f64 v[253:254], v[136:137], s[28:29], -v[247:248]
	v_fma_f64 v[241:242], v[108:109], s[4:5], v[241:242]
	v_fma_f64 v[243:244], v[164:165], s[28:29], -v[243:244]
	v_add_f64 v[237:238], v[249:250], v[237:238]
	v_mul_f64 v[249:250], v[158:159], s[36:37]
	v_add_f64 v[223:224], v[225:226], v[223:224]
	v_mul_f64 v[225:226], v[146:147], s[36:37]
	;; [unrolled: 2-line block ×3, first 2 shown]
	v_mul_f64 v[229:230], v[126:127], s[18:19]
	v_mul_f64 v[190:191], v[128:129], s[8:9]
	v_add_f64 v[237:238], v[253:254], v[237:238]
	v_mul_f64 v[253:254], v[126:127], s[26:27]
	v_mul_f64 v[208:209], v[128:129], s[26:27]
	;; [unrolled: 1-line block ×3, first 2 shown]
	v_fma_f64 v[126:127], v[160:161], s[6:7], v[249:250]
	v_add_f64 v[223:224], v[241:242], v[223:224]
	v_fma_f64 v[241:242], v[138:139], s[6:7], -v[225:226]
	v_fma_f64 v[249:250], v[160:161], s[6:7], -v[249:250]
	v_fma_f64 v[247:248], v[136:137], s[28:29], v[247:248]
	v_add_f64 v[233:234], v[243:244], v[233:234]
	v_mul_f64 v[243:244], v[128:129], s[30:31]
	v_fma_f64 v[128:129], v[98:99], s[24:25], v[253:254]
	v_fma_f64 v[98:99], v[98:99], s[24:25], -v[253:254]
	v_fma_f64 v[235:236], v[200:201], s[24:25], v[245:246]
	v_add_f64 v[126:127], v[126:127], v[239:240]
	v_mul_f64 v[239:240], v[196:197], s[26:27]
	v_add_f64 v[237:238], v[241:242], v[237:238]
	v_fma_f64 v[225:226], v[138:139], s[6:7], v[225:226]
	v_add_f64 v[223:224], v[247:248], v[223:224]
	v_add_f64 v[233:234], v[249:250], v[233:234]
	v_fma_f64 v[241:242], v[102:103], s[20:21], v[243:244]
	v_add_f64 v[128:129], v[30:31], v[128:129]
	v_mul_f64 v[247:248], v[124:125], s[36:37]
	v_fma_f64 v[245:246], v[200:201], s[24:25], -v[245:246]
	v_mul_f64 v[104:105], v[104:105], s[26:27]
	v_fma_f64 v[102:103], v[102:103], s[20:21], -v[243:244]
	v_add_f64 v[98:99], v[30:31], v[98:99]
	buffer_store_dword v70, off, s[44:47], 0 ; 4-byte Folded Spill
	s_nop 0
	buffer_store_dword v71, off, s[44:47], 0 offset:4 ; 4-byte Folded Spill
	v_mul_f64 v[184:185], v[90:91], s[6:7]
	v_mul_f64 v[186:187], v[90:91], s[4:5]
	v_mul_f64 v[180:181], v[90:91], s[14:15]
	v_fma_f64 v[249:250], v[178:179], s[24:25], -v[239:240]
	v_add_f64 v[223:224], v[225:226], v[223:224]
	v_mul_f64 v[70:71], v[166:167], s[18:19]
	v_add_f64 v[241:242], v[241:242], v[128:129]
	v_fma_f64 v[202:203], v[114:115], s[6:7], v[247:248]
	v_add_f64 v[225:226], v[245:246], v[233:234]
	v_mul_f64 v[112:113], v[112:113], s[30:31]
	v_fma_f64 v[233:234], v[90:91], s[24:25], -v[104:105]
	v_fma_f64 v[114:115], v[114:115], s[6:7], -v[247:248]
	v_add_f64 v[98:99], v[102:103], v[98:99]
	v_fma_f64 v[90:91], v[90:91], s[24:25], v[104:105]
	v_mul_f64 v[188:189], v[92:93], s[4:5]
	v_mul_f64 v[194:195], v[92:93], s[24:25]
	;; [unrolled: 1-line block ×3, first 2 shown]
	v_fma_f64 v[239:240], v[178:179], s[24:25], v[239:240]
	v_add_f64 v[128:129], v[235:236], v[126:127]
	v_add_f64 v[126:127], v[249:250], v[237:238]
	v_fma_f64 v[235:236], v[164:165], s[14:15], v[70:71]
	v_add_f64 v[202:203], v[202:203], v[241:242]
	v_mul_f64 v[237:238], v[158:159], s[34:35]
	v_fma_f64 v[245:246], v[92:93], s[20:21], -v[112:113]
	v_add_f64 v[233:234], v[28:29], v[233:234]
	v_mul_f64 v[116:117], v[116:117], s[36:37]
	v_fma_f64 v[70:71], v[164:165], s[14:15], -v[70:71]
	v_add_f64 v[98:99], v[114:115], v[98:99]
	v_fma_f64 v[92:93], v[92:93], s[20:21], v[112:113]
	v_add_f64 v[90:91], v[28:29], v[90:91]
	v_add_f64 v[223:224], v[239:240], v[223:224]
	v_mul_f64 v[239:240], v[108:109], s[28:29]
	v_mul_f64 v[241:242], v[108:109], s[24:25]
	v_add_f64 v[202:203], v[235:236], v[202:203]
	v_fma_f64 v[235:236], v[160:161], s[28:29], v[237:238]
	v_add_f64 v[233:234], v[245:246], v[233:234]
	v_fma_f64 v[245:246], v[108:109], s[6:7], -v[116:117]
	v_mul_f64 v[172:173], v[172:173], s[18:19]
	v_fma_f64 v[160:161], v[160:161], s[28:29], -v[237:238]
	v_mul_f64 v[112:113], v[198:199], s[42:43]
	v_add_f64 v[70:71], v[70:71], v[98:99]
	v_fma_f64 v[108:109], v[108:109], s[6:7], v[116:117]
	v_add_f64 v[90:91], v[92:93], v[90:91]
	v_mul_f64 v[243:244], v[136:137], s[24:25]
	v_mul_f64 v[247:248], v[136:137], s[20:21]
	v_add_f64 v[233:234], v[245:246], v[233:234]
	v_fma_f64 v[245:246], v[136:137], s[14:15], -v[172:173]
	v_mul_f64 v[164:165], v[136:137], s[6:7]
	v_mul_f64 v[98:99], v[146:147], s[34:35]
	v_fma_f64 v[92:93], v[200:201], s[4:5], v[112:113]
	v_fma_f64 v[112:113], v[200:201], s[4:5], -v[112:113]
	v_add_f64 v[70:71], v[160:161], v[70:71]
	v_fma_f64 v[136:137], v[136:137], s[14:15], v[172:173]
	v_add_f64 v[108:109], v[108:109], v[90:91]
	v_add_f64 v[210:211], v[210:211], -v[229:230]
	v_mul_f64 v[251:252], v[124:125], s[18:19]
	v_mul_f64 v[124:125], v[124:125], s[40:41]
	;; [unrolled: 1-line block ×3, first 2 shown]
	v_add_f64 v[233:234], v[245:246], v[233:234]
	v_mul_f64 v[245:246], v[138:139], s[14:15]
	v_mul_f64 v[249:250], v[138:139], s[4:5]
	v_fma_f64 v[160:161], v[138:139], s[28:29], -v[98:99]
	v_fma_f64 v[138:139], v[138:139], s[28:29], v[98:99]
	v_add_f64 v[108:109], v[136:137], v[108:109]
	v_add_f64 v[98:99], v[112:113], v[70:71]
	v_add_f64 v[70:71], v[212:213], -v[231:232]
	v_add_f64 v[112:113], v[30:31], v[210:211]
	v_add_f64 v[148:149], v[148:149], -v[227:228]
	v_add_f64 v[18:19], v[30:31], v[18:19]
	v_add_f64 v[16:17], v[28:29], v[16:17]
	;; [unrolled: 1-line block ×3, first 2 shown]
	v_mul_f64 v[235:236], v[166:167], s[26:27]
	v_mul_f64 v[102:103], v[166:167], s[30:31]
	;; [unrolled: 1-line block ×3, first 2 shown]
	v_add_f64 v[108:109], v[138:139], v[108:109]
	v_add_f64 v[124:125], v[162:163], -v[124:125]
	v_add_f64 v[138:139], v[180:181], v[140:141]
	v_add_f64 v[70:71], v[70:71], v[112:113]
	v_add_f64 v[112:113], v[120:121], -v[208:209]
	v_add_f64 v[120:121], v[30:31], v[148:149]
	v_add_f64 v[18:19], v[18:19], v[38:39]
	;; [unrolled: 1-line block ×3, first 2 shown]
	v_mul_f64 v[114:115], v[158:159], s[22:23]
	v_mul_f64 v[237:238], v[158:159], s[38:39]
	;; [unrolled: 1-line block ×3, first 2 shown]
	v_add_f64 v[36:37], v[170:171], -v[166:167]
	v_add_f64 v[38:39], v[182:183], v[142:143]
	v_add_f64 v[138:139], v[28:29], v[138:139]
	v_add_f64 v[70:71], v[124:125], v[70:71]
	v_add_f64 v[122:123], v[122:123], -v[206:207]
	v_add_f64 v[112:113], v[112:113], v[120:121]
	v_add_f64 v[18:19], v[18:19], v[34:35]
	v_add_f64 v[16:17], v[16:17], v[32:33]
	;; [unrolled: 4-line block ×4, first 2 shown]
	v_add_f64 v[46:47], v[164:165], v[150:151]
	v_mul_f64 v[116:117], v[178:179], s[28:29]
	v_add_f64 v[34:35], v[34:35], v[38:39]
	v_add_f64 v[32:33], v[32:33], v[36:37]
	v_add_f64 v[36:37], v[152:153], -v[237:238]
	v_add_f64 v[38:39], v[70:71], v[102:103]
	v_add_f64 v[18:19], v[18:19], v[50:51]
	;; [unrolled: 1-line block ×3, first 2 shown]
	v_add_f64 v[70:71], v[74:75], -v[192:193]
	v_add_f64 v[74:75], v[76:77], -v[190:191]
	v_mul_f64 v[146:147], v[178:179], s[6:7]
	v_mul_f64 v[172:173], v[198:199], s[36:37]
	;; [unrolled: 1-line block ×3, first 2 shown]
	v_add_f64 v[36:37], v[36:37], v[38:39]
	v_add_f64 v[18:19], v[18:19], v[62:63]
	;; [unrolled: 1-line block ×8, first 2 shown]
	v_mul_f64 v[198:199], v[198:199], s[22:23]
	v_add_f64 v[18:19], v[18:19], v[58:59]
	v_add_f64 v[16:17], v[16:17], v[56:57]
	;; [unrolled: 1-line block ×4, first 2 shown]
	buffer_load_dword v60, off, s[44:47], 0 offset:8 ; 4-byte Folded Reload
	buffer_load_dword v61, off, s[44:47], 0 offset:12 ; 4-byte Folded Reload
	v_add_f64 v[56:57], v[239:240], v[110:111]
	v_add_f64 v[58:59], v[80:81], -v[251:252]
	v_add_f64 v[30:31], v[74:75], v[30:31]
	v_add_f64 v[18:19], v[18:19], v[54:55]
	v_add_f64 v[16:17], v[16:17], v[52:53]
	v_add_f64 v[52:53], v[247:248], v[118:119]
	v_add_f64 v[28:29], v[62:63], v[28:29]
	v_add_f64 v[38:39], v[70:71], v[38:39]
	v_add_f64 v[54:55], v[84:85], -v[235:236]
	v_add_f64 v[50:51], v[249:250], v[154:155]
	v_add_f64 v[30:31], v[58:59], v[30:31]
	v_add_f64 v[18:19], v[18:19], v[42:43]
	v_add_f64 v[16:17], v[16:17], v[40:41]
	v_add_f64 v[58:59], v[243:244], v[82:83]
	;; [unrolled: 7-line block ×3, first 2 shown]
	v_add_f64 v[54:55], v[104:105], v[86:87]
	v_add_f64 v[26:27], v[52:53], v[28:29]
	buffer_load_dword v28, off, s[44:47], 0 ; 4-byte Folded Reload
	buffer_load_dword v29, off, s[44:47], 0 offset:4 ; 4-byte Folded Reload
	v_mul_f64 v[196:197], v[196:197], s[42:43]
	v_add_f64 v[46:47], v[156:157], -v[172:173]
	v_add_f64 v[30:31], v[42:43], v[30:31]
	v_add_f64 v[18:19], v[18:19], v[22:23]
	v_add_f64 v[22:23], v[16:17], v[20:21]
	v_add_f64 v[42:43], v[116:117], v[94:95]
	v_add_f64 v[40:41], v[40:41], v[26:27]
	v_add_f64 v[44:45], v[176:177], -v[198:199]
	v_add_f64 v[48:49], v[200:201], v[168:169]
	v_add_f64 v[34:35], v[50:51], v[34:35]
	v_fma_f64 v[136:137], v[178:179], s[4:5], v[196:197]
	v_add_f64 v[90:91], v[92:93], v[202:203]
	v_fma_f64 v[92:93], v[178:179], s[4:5], -v[196:197]
	v_add_f64 v[160:161], v[160:161], v[233:234]
	v_add_f64 v[26:27], v[22:23], v[12:13]
	;; [unrolled: 1-line block ×4, first 2 shown]
	s_movk_i32 s4, 0xc0
	v_mad_u32_u24 v12, v66, s4, v214
	v_add_f64 v[88:89], v[92:93], v[160:161]
	s_waitcnt vmcnt(2)
	v_add_f64 v[60:61], v[60:61], v[78:79]
	v_add_f64 v[38:39], v[60:61], v[38:39]
	;; [unrolled: 1-line block ×4, first 2 shown]
	s_waitcnt vmcnt(0)
	v_add_f64 v[28:29], v[96:97], -v[28:29]
	v_add_f64 v[52:53], v[54:55], v[24:25]
	v_add_f64 v[96:97], v[136:137], v[108:109]
	;; [unrolled: 1-line block ×7, first 2 shown]
	ds_write_b128 v12, v[26:29]
	ds_write_b128 v12, v[22:25] offset:16
	ds_write_b128 v12, v[18:21] offset:32
	;; [unrolled: 1-line block ×12, first 2 shown]
.LBB0_15:
	s_or_b64 exec, exec, s[16:17]
	s_movk_i32 s4, 0x4f
	v_mul_lo_u16_sdwa v12, v66, s4 dst_sel:DWORD dst_unused:UNUSED_PAD src0_sel:BYTE_0 src1_sel:DWORD
	v_lshrrev_b16_e32 v67, 10, v12
	v_mul_lo_u16_e32 v12, 13, v67
	v_sub_u16_e32 v112, v66, v12
	v_mov_b32_e32 v12, 9
	v_mul_u32_u24_sdwa v12, v112, v12 dst_sel:DWORD dst_unused:UNUSED_PAD src0_sel:BYTE_0 src1_sel:DWORD
	v_lshlrev_b32_e32 v48, 4, v12
	s_load_dwordx2 s[2:3], s[2:3], 0x0
	s_waitcnt lgkmcnt(0)
	s_barrier
	global_load_dwordx4 v[12:15], v48, s[12:13]
	global_load_dwordx4 v[16:19], v48, s[12:13] offset:16
	global_load_dwordx4 v[20:23], v48, s[12:13] offset:32
	;; [unrolled: 1-line block ×8, first 2 shown]
	ds_read_b128 v[48:51], v214
	ds_read_b128 v[52:55], v214 offset:2704
	ds_read_b128 v[56:59], v214 offset:5408
	;; [unrolled: 1-line block ×9, first 2 shown]
	s_mov_b32 s16, 0x134454ff
	s_mov_b32 s17, 0xbfee6f0e
	;; [unrolled: 1-line block ×12, first 2 shown]
	s_waitcnt vmcnt(0) lgkmcnt(0)
	s_barrier
	v_mul_f64 v[94:95], v[54:55], v[14:15]
	v_mul_f64 v[14:15], v[52:53], v[14:15]
	;; [unrolled: 1-line block ×18, first 2 shown]
	v_fma_f64 v[52:53], v[52:53], v[12:13], v[94:95]
	v_fma_f64 v[12:13], v[54:55], v[12:13], -v[14:15]
	v_fma_f64 v[14:15], v[56:57], v[16:17], v[96:97]
	v_fma_f64 v[16:17], v[58:59], v[16:17], -v[18:19]
	;; [unrolled: 2-line block ×6, first 2 shown]
	v_fma_f64 v[34:35], v[88:89], v[40:41], -v[42:43]
	v_fma_f64 v[42:43], v[82:83], v[36:37], v[106:107]
	v_fma_f64 v[36:37], v[84:85], v[36:37], -v[38:39]
	v_fma_f64 v[38:39], v[86:87], v[40:41], v[108:109]
	v_fma_f64 v[40:41], v[90:91], v[44:45], v[110:111]
	v_fma_f64 v[44:45], v[92:93], v[44:45], -v[46:47]
	v_add_f64 v[46:47], v[48:49], v[14:15]
	v_add_f64 v[54:55], v[22:23], v[30:31]
	v_add_f64 v[60:61], v[14:15], -v[22:23]
	v_add_f64 v[76:77], v[50:51], v[16:17]
	v_add_f64 v[78:79], v[24:25], v[32:33]
	v_add_f64 v[62:63], v[38:39], -v[30:31]
	v_add_f64 v[70:71], v[14:15], v[38:39]
	v_add_f64 v[56:57], v[16:17], -v[34:35]
	v_add_f64 v[58:59], v[24:25], -v[32:33]
	;; [unrolled: 1-line block ×6, first 2 shown]
	v_add_f64 v[86:87], v[16:17], v[34:35]
	v_add_f64 v[16:17], v[24:25], -v[16:17]
	v_add_f64 v[22:23], v[46:47], v[22:23]
	v_fma_f64 v[46:47], v[54:55], -0.5, v[48:49]
	v_add_f64 v[54:55], v[60:61], v[62:63]
	v_fma_f64 v[48:49], v[70:71], -0.5, v[48:49]
	;; [unrolled: 2-line block ×3, first 2 shown]
	v_add_f64 v[74:75], v[30:31], -v[38:39]
	v_add_f64 v[84:85], v[34:35], -v[32:33]
	;; [unrolled: 1-line block ×3, first 2 shown]
	v_add_f64 v[92:93], v[26:27], v[42:43]
	v_fma_f64 v[50:51], v[86:87], -0.5, v[50:51]
	v_add_f64 v[22:23], v[22:23], v[30:31]
	v_fma_f64 v[30:31], v[56:57], s[16:17], v[46:47]
	v_fma_f64 v[46:47], v[56:57], s[6:7], v[46:47]
	;; [unrolled: 1-line block ×3, first 2 shown]
	v_add_f64 v[24:25], v[24:25], v[32:33]
	v_fma_f64 v[32:33], v[14:15], s[6:7], v[62:63]
	v_add_f64 v[94:95], v[20:21], -v[44:45]
	v_add_f64 v[60:61], v[72:73], v[74:75]
	v_add_f64 v[70:71], v[82:83], v[84:85]
	v_fma_f64 v[74:75], v[92:93], -0.5, v[52:53]
	v_fma_f64 v[48:49], v[58:59], s[16:17], v[48:49]
	v_fma_f64 v[62:63], v[14:15], s[16:17], v[62:63]
	;; [unrolled: 1-line block ×8, first 2 shown]
	v_add_f64 v[90:91], v[52:53], v[18:19]
	v_add_f64 v[96:97], v[28:29], -v[36:37]
	v_add_f64 v[98:99], v[18:19], -v[26:27]
	v_fma_f64 v[82:83], v[94:95], s[16:17], v[74:75]
	v_fma_f64 v[48:49], v[56:57], s[8:9], v[48:49]
	;; [unrolled: 1-line block ×3, first 2 shown]
	v_add_f64 v[38:39], v[22:23], v[38:39]
	v_add_f64 v[34:35], v[24:25], v[34:35]
	v_fma_f64 v[62:63], v[54:55], s[4:5], v[30:31]
	v_fma_f64 v[46:47], v[54:55], s[4:5], v[46:47]
	;; [unrolled: 1-line block ×4, first 2 shown]
	v_add_f64 v[22:23], v[40:41], -v[42:43]
	v_add_f64 v[24:25], v[18:19], v[40:41]
	v_fma_f64 v[30:31], v[14:15], s[8:9], v[78:79]
	v_add_f64 v[32:33], v[28:29], v[36:37]
	v_add_f64 v[16:17], v[16:17], v[88:89]
	v_fma_f64 v[14:15], v[14:15], s[14:15], v[50:51]
	v_add_f64 v[72:73], v[90:91], v[26:27]
	v_fma_f64 v[48:49], v[60:61], s[4:5], v[48:49]
	v_fma_f64 v[56:57], v[70:71], s[4:5], v[56:57]
	;; [unrolled: 1-line block ×3, first 2 shown]
	v_add_f64 v[22:23], v[98:99], v[22:23]
	v_fma_f64 v[24:25], v[24:25], -0.5, v[52:53]
	v_fma_f64 v[52:53], v[94:95], s[6:7], v[74:75]
	v_fma_f64 v[32:33], v[32:33], -0.5, v[12:13]
	v_add_f64 v[70:71], v[18:19], -v[40:41]
	v_fma_f64 v[74:75], v[16:17], s[4:5], v[14:15]
	v_add_f64 v[14:15], v[20:21], v[44:45]
	v_add_f64 v[50:51], v[72:73], v[42:43]
	v_fma_f64 v[72:73], v[16:17], s[4:5], v[30:31]
	v_fma_f64 v[30:31], v[22:23], s[4:5], v[60:61]
	v_add_f64 v[76:77], v[26:27], -v[42:43]
	v_add_f64 v[78:79], v[20:21], -v[28:29]
	v_fma_f64 v[60:61], v[70:71], s[6:7], v[32:33]
	v_add_f64 v[80:81], v[44:45], -v[36:37]
	v_fma_f64 v[14:15], v[14:15], -0.5, v[12:13]
	v_add_f64 v[12:13], v[12:13], v[20:21]
	v_add_f64 v[50:51], v[50:51], v[40:41]
	v_fma_f64 v[16:17], v[96:97], s[6:7], v[24:25]
	v_add_f64 v[18:19], v[26:27], -v[18:19]
	v_add_f64 v[26:27], v[42:43], -v[40:41]
	v_fma_f64 v[24:25], v[96:97], s[16:17], v[24:25]
	v_fma_f64 v[40:41], v[76:77], s[8:9], v[60:61]
	v_add_f64 v[42:43], v[78:79], v[80:81]
	v_fma_f64 v[60:61], v[76:77], s[16:17], v[14:15]
	v_add_f64 v[20:21], v[28:29], -v[20:21]
	v_add_f64 v[78:79], v[36:37], -v[44:45]
	v_fma_f64 v[14:15], v[76:77], s[6:7], v[14:15]
	v_add_f64 v[12:13], v[12:13], v[28:29]
	v_fma_f64 v[28:29], v[70:71], s[16:17], v[32:33]
	v_fma_f64 v[16:17], v[94:95], s[14:15], v[16:17]
	v_add_f64 v[18:19], v[18:19], v[26:27]
	v_fma_f64 v[24:25], v[94:95], s[8:9], v[24:25]
	v_fma_f64 v[26:27], v[42:43], s[4:5], v[40:41]
	;; [unrolled: 1-line block ×3, first 2 shown]
	v_add_f64 v[20:21], v[20:21], v[78:79]
	v_fma_f64 v[14:15], v[70:71], s[14:15], v[14:15]
	v_fma_f64 v[28:29], v[76:77], s[14:15], v[28:29]
	v_add_f64 v[12:13], v[12:13], v[36:37]
	v_fma_f64 v[36:37], v[18:19], s[4:5], v[16:17]
	v_fma_f64 v[18:19], v[18:19], s[4:5], v[24:25]
	v_mul_f64 v[16:17], v[26:27], s[14:15]
	v_fma_f64 v[52:53], v[96:97], s[8:9], v[52:53]
	v_fma_f64 v[24:25], v[20:21], s[4:5], v[32:33]
	;; [unrolled: 1-line block ×4, first 2 shown]
	v_mul_f64 v[26:27], v[26:27], s[18:19]
	v_fma_f64 v[40:41], v[30:31], s[18:19], v[16:17]
	v_fma_f64 v[22:23], v[22:23], s[4:5], v[52:53]
	v_mul_f64 v[16:17], v[24:25], s[16:17]
	v_mul_f64 v[28:29], v[14:15], s[16:17]
	s_mov_b32 s17, 0xbfd3c6ef
	s_mov_b32 s16, s4
	v_mul_f64 v[32:33], v[20:21], s[14:15]
	s_mov_b32 s15, 0xbfe9e377
	s_mov_b32 s14, s18
	v_mul_f64 v[24:25], v[24:25], s[4:5]
	v_mul_f64 v[14:15], v[14:15], s[16:17]
	;; [unrolled: 1-line block ×3, first 2 shown]
	v_add_f64 v[52:53], v[12:13], v[44:45]
	v_fma_f64 v[42:43], v[36:37], s[4:5], v[16:17]
	v_fma_f64 v[44:45], v[18:19], s[16:17], v[28:29]
	;; [unrolled: 1-line block ×7, first 2 shown]
	v_add_f64 v[12:13], v[38:39], v[50:51]
	v_add_f64 v[16:17], v[62:63], v[40:41]
	;; [unrolled: 1-line block ×10, first 2 shown]
	v_add_f64 v[32:33], v[38:39], -v[50:51]
	v_add_f64 v[36:37], v[62:63], -v[40:41]
	;; [unrolled: 1-line block ×10, first 2 shown]
	v_mov_b32_e32 v53, 4
	v_mul_u32_u24_e32 v52, 0x820, v67
	v_lshlrev_b32_sdwa v53, v53, v112 dst_sel:DWORD dst_unused:UNUSED_PAD src0_sel:DWORD src1_sel:BYTE_0
	v_add3_u32 v52, 0, v52, v53
	ds_write_b128 v52, v[12:15]
	ds_write_b128 v52, v[16:19] offset:208
	ds_write_b128 v52, v[20:23] offset:416
	;; [unrolled: 1-line block ×9, first 2 shown]
	s_waitcnt lgkmcnt(0)
	s_barrier
	s_and_saveexec_b64 s[4:5], vcc
	s_cbranch_execz .LBB0_17
; %bb.16:
	ds_read_b128 v[12:15], v214
	ds_read_b128 v[16:19], v214 offset:2080
	ds_read_b128 v[20:23], v214 offset:4160
	;; [unrolled: 1-line block ×12, first 2 shown]
.LBB0_17:
	s_or_b64 exec, exec, s[4:5]
	s_waitcnt lgkmcnt(0)
	s_barrier
	s_and_saveexec_b64 s[4:5], vcc
	s_cbranch_execz .LBB0_19
; %bb.18:
	v_add_u32_e32 v52, 0xffffff7e, v66
	v_cndmask_b32_e32 v52, v52, v66, vcc
	v_mul_i32_i24_e32 v52, 12, v52
	v_mov_b32_e32 v53, 0
	v_lshlrev_b64 v[52:53], 4, v[52:53]
	v_mov_b32_e32 v54, s13
	v_add_co_u32_e32 v52, vcc, s12, v52
	v_addc_co_u32_e32 v53, vcc, v54, v53, vcc
	global_load_dwordx4 v[54:57], v[52:53], off offset:1952
	global_load_dwordx4 v[58:61], v[52:53], off offset:1968
	;; [unrolled: 1-line block ×12, first 2 shown]
	s_mov_b32 s28, 0x4bc48dbf
	s_mov_b32 s29, 0xbfcea1e5
	;; [unrolled: 1-line block ×32, first 2 shown]
	s_waitcnt vmcnt(11)
	v_mul_f64 v[52:53], v[38:39], v[56:57]
	s_waitcnt vmcnt(10)
	v_mul_f64 v[62:63], v[42:43], v[60:61]
	v_mul_f64 v[56:57], v[36:37], v[56:57]
	s_waitcnt vmcnt(9)
	v_mul_f64 v[110:111], v[34:35], v[72:73]
	s_waitcnt vmcnt(7)
	;; [unrolled: 2-line block ×3, first 2 shown]
	v_mul_f64 v[116:117], v[50:51], v[84:85]
	v_mul_f64 v[80:81], v[28:29], v[80:81]
	;; [unrolled: 1-line block ×3, first 2 shown]
	s_waitcnt vmcnt(3)
	v_mul_f64 v[122:123], v[22:23], v[96:97]
	v_mul_f64 v[96:97], v[20:21], v[96:97]
	s_waitcnt vmcnt(1)
	v_mul_f64 v[126:127], v[18:19], v[104:105]
	s_waitcnt vmcnt(0)
	v_mul_f64 v[128:129], v[10:11], v[108:109]
	v_mul_f64 v[60:61], v[40:41], v[60:61]
	;; [unrolled: 1-line block ×6, first 2 shown]
	v_fma_f64 v[52:53], v[36:37], v[54:55], v[52:53]
	v_fma_f64 v[40:41], v[40:41], v[58:59], v[62:63]
	v_fma_f64 v[54:55], v[38:39], v[54:55], -v[56:57]
	v_fma_f64 v[56:57], v[32:33], v[70:71], v[110:111]
	v_fma_f64 v[32:33], v[48:49], v[82:83], v[116:117]
	v_fma_f64 v[62:63], v[30:31], v[78:79], -v[80:81]
	v_fma_f64 v[30:31], v[50:51], v[82:83], -v[84:85]
	v_fma_f64 v[82:83], v[20:21], v[94:95], v[122:123]
	v_fma_f64 v[84:85], v[22:23], v[94:95], -v[96:97]
	v_fma_f64 v[94:95], v[16:17], v[102:103], v[126:127]
	v_fma_f64 v[16:17], v[8:9], v[106:107], v[128:129]
	v_mul_f64 v[112:113], v[46:47], v[76:77]
	v_mul_f64 v[76:77], v[44:45], v[76:77]
	;; [unrolled: 1-line block ×5, first 2 shown]
	v_fma_f64 v[20:21], v[4:5], v[98:99], v[124:125]
	v_fma_f64 v[102:103], v[18:19], v[102:103], -v[104:105]
	v_fma_f64 v[18:19], v[10:11], v[106:107], -v[108:109]
	v_add_f64 v[116:117], v[94:95], -v[16:17]
	v_mul_f64 v[88:89], v[24:25], v[88:89]
	v_mul_f64 v[92:93], v[0:1], v[92:93]
	v_fma_f64 v[38:39], v[42:43], v[58:59], -v[60:61]
	v_fma_f64 v[36:37], v[44:45], v[74:75], v[112:113]
	v_fma_f64 v[58:59], v[34:35], v[70:71], -v[72:73]
	v_fma_f64 v[34:35], v[46:47], v[74:75], -v[76:77]
	v_fma_f64 v[60:61], v[28:29], v[78:79], v[114:115]
	v_fma_f64 v[72:73], v[24:25], v[86:87], v[118:119]
	;; [unrolled: 1-line block ×3, first 2 shown]
	v_fma_f64 v[22:23], v[6:7], v[98:99], -v[100:101]
	v_add_f64 v[114:115], v[82:83], -v[20:21]
	v_add_f64 v[74:75], v[102:103], v[18:19]
	v_add_f64 v[108:109], v[102:103], -v[18:19]
	v_mul_f64 v[0:1], v[116:117], s[28:29]
	v_fma_f64 v[76:77], v[26:27], v[86:87], -v[88:89]
	v_fma_f64 v[28:29], v[2:3], v[90:91], -v[92:93]
	v_add_f64 v[96:97], v[72:73], -v[24:25]
	v_add_f64 v[50:51], v[84:85], v[22:23]
	v_add_f64 v[106:107], v[84:85], -v[22:23]
	v_add_f64 v[100:101], v[94:95], v[16:17]
	v_mul_f64 v[2:3], v[114:115], s[26:27]
	v_mul_f64 v[4:5], v[108:109], s[28:29]
	v_fma_f64 v[6:7], v[74:75], s[22:23], v[0:1]
	v_add_f64 v[86:87], v[60:61], -v[32:33]
	v_add_f64 v[46:47], v[76:77], v[28:29]
	v_add_f64 v[110:111], v[76:77], -v[28:29]
	v_add_f64 v[98:99], v[82:83], v[20:21]
	v_mul_f64 v[10:11], v[96:97], s[20:21]
	v_mul_f64 v[112:113], v[106:107], s[26:27]
	v_fma_f64 v[118:119], v[50:51], s[24:25], v[2:3]
	v_fma_f64 v[120:121], v[100:101], s[22:23], -v[4:5]
	v_add_f64 v[6:7], v[14:15], v[6:7]
	v_add_f64 v[78:79], v[56:57], -v[36:37]
	v_add_f64 v[44:45], v[62:63], v[30:31]
	v_add_f64 v[104:105], v[62:63], -v[30:31]
	v_add_f64 v[90:91], v[72:73], v[24:25]
	v_mul_f64 v[124:125], v[86:87], s[36:37]
	v_mul_f64 v[128:129], v[110:111], s[20:21]
	v_fma_f64 v[130:131], v[46:47], s[16:17], v[10:11]
	v_fma_f64 v[132:133], v[98:99], s[24:25], -v[112:113]
	v_add_f64 v[120:121], v[12:13], v[120:121]
	v_add_f64 v[6:7], v[118:119], v[6:7]
	v_fma_f64 v[0:1], v[74:75], s[22:23], -v[0:1]
	v_add_f64 v[70:71], v[52:53], -v[40:41]
	v_add_f64 v[42:43], v[58:59], v[34:35]
	v_add_f64 v[92:93], v[58:59], -v[34:35]
	v_add_f64 v[80:81], v[60:61], v[32:33]
	v_mul_f64 v[122:123], v[78:79], s[14:15]
	v_mul_f64 v[118:119], v[104:105], s[36:37]
	v_fma_f64 v[134:135], v[44:45], s[18:19], v[124:125]
	v_fma_f64 v[136:137], v[90:91], s[16:17], -v[128:129]
	v_fma_f64 v[2:3], v[50:51], s[24:25], -v[2:3]
	v_fma_f64 v[4:5], v[100:101], s[22:23], v[4:5]
	v_add_f64 v[120:121], v[132:133], v[120:121]
	v_add_f64 v[6:7], v[130:131], v[6:7]
	;; [unrolled: 1-line block ×4, first 2 shown]
	v_add_f64 v[88:89], v[54:55], -v[38:39]
	v_add_f64 v[48:49], v[56:57], v[36:37]
	v_mul_f64 v[8:9], v[70:71], s[30:31]
	v_mul_f64 v[126:127], v[92:93], s[14:15]
	v_fma_f64 v[130:131], v[42:43], s[8:9], v[122:123]
	v_fma_f64 v[132:133], v[80:81], s[18:19], -v[118:119]
	v_fma_f64 v[10:11], v[46:47], s[16:17], -v[10:11]
	v_fma_f64 v[138:139], v[98:99], s[24:25], v[112:113]
	v_add_f64 v[4:5], v[12:13], v[4:5]
	v_add_f64 v[120:121], v[136:137], v[120:121]
	;; [unrolled: 1-line block ×5, first 2 shown]
	v_mul_f64 v[134:135], v[88:89], s[30:31]
	v_fma_f64 v[2:3], v[48:49], s[8:9], -v[126:127]
	v_fma_f64 v[128:129], v[90:91], s[16:17], v[128:129]
	v_add_f64 v[4:5], v[138:139], v[4:5]
	v_add_f64 v[120:121], v[132:133], v[120:121]
	v_fma_f64 v[124:125], v[44:45], s[18:19], -v[124:125]
	v_add_f64 v[0:1], v[10:11], v[0:1]
	v_fma_f64 v[10:11], v[26:27], s[6:7], v[8:9]
	v_add_f64 v[6:7], v[130:131], v[6:7]
	v_fma_f64 v[130:131], v[112:113], s[6:7], -v[134:135]
	v_fma_f64 v[118:119], v[80:81], s[18:19], v[118:119]
	v_add_f64 v[4:5], v[128:129], v[4:5]
	v_add_f64 v[120:121], v[2:3], v[120:121]
	v_fma_f64 v[122:123], v[42:43], s[8:9], -v[122:123]
	v_add_f64 v[124:125], v[124:125], v[0:1]
	v_mul_f64 v[138:139], v[86:87], s[42:43]
	v_add_f64 v[2:3], v[10:11], v[6:7]
	v_mul_f64 v[10:11], v[116:117], s[20:21]
	v_fma_f64 v[6:7], v[48:49], s[8:9], v[126:127]
	v_add_f64 v[4:5], v[118:119], v[4:5]
	v_add_f64 v[0:1], v[130:131], v[120:121]
	v_mul_f64 v[120:121], v[108:109], s[20:21]
	v_add_f64 v[118:119], v[122:123], v[124:125]
	v_mul_f64 v[124:125], v[114:115], s[30:31]
	v_mul_f64 v[130:131], v[96:97], s[34:35]
	v_fma_f64 v[126:127], v[74:75], s[16:17], v[10:11]
	v_fma_f64 v[122:123], v[112:113], s[6:7], v[134:135]
	v_add_f64 v[4:5], v[6:7], v[4:5]
	v_mul_f64 v[6:7], v[106:107], s[30:31]
	v_fma_f64 v[128:129], v[100:101], s[16:17], -v[120:121]
	v_mul_f64 v[134:135], v[110:111], s[34:35]
	v_fma_f64 v[132:133], v[50:51], s[6:7], v[124:125]
	v_fma_f64 v[140:141], v[46:47], s[18:19], v[130:131]
	v_add_f64 v[126:127], v[14:15], v[126:127]
	v_mul_f64 v[144:145], v[104:105], s[42:43]
	v_fma_f64 v[10:11], v[74:75], s[16:17], -v[10:11]
	v_fma_f64 v[136:137], v[98:99], s[6:7], -v[6:7]
	v_add_f64 v[128:129], v[12:13], v[128:129]
	v_fma_f64 v[146:147], v[90:91], s[18:19], -v[134:135]
	v_fma_f64 v[120:121], v[100:101], s[16:17], v[120:121]
	v_mul_f64 v[142:143], v[70:71], s[14:15]
	v_add_f64 v[126:127], v[132:133], v[126:127]
	v_mul_f64 v[132:133], v[78:79], s[26:27]
	v_mul_f64 v[148:149], v[92:93], s[26:27]
	v_fma_f64 v[150:151], v[80:81], s[22:23], -v[144:145]
	v_add_f64 v[128:129], v[136:137], v[128:129]
	v_fma_f64 v[136:137], v[44:45], s[22:23], v[138:139]
	v_fma_f64 v[124:125], v[50:51], s[6:7], -v[124:125]
	v_add_f64 v[10:11], v[14:15], v[10:11]
	v_add_f64 v[126:127], v[140:141], v[126:127]
	v_fma_f64 v[140:141], v[42:43], s[24:25], v[132:133]
	v_fma_f64 v[6:7], v[98:99], s[6:7], v[6:7]
	v_add_f64 v[120:121], v[12:13], v[120:121]
	v_add_f64 v[128:129], v[146:147], v[128:129]
	v_fma_f64 v[8:9], v[26:27], s[6:7], -v[8:9]
	v_fma_f64 v[146:147], v[48:49], s[24:25], -v[148:149]
	;; [unrolled: 1-line block ×3, first 2 shown]
	v_add_f64 v[126:127], v[136:137], v[126:127]
	v_mul_f64 v[136:137], v[88:89], s[14:15]
	v_add_f64 v[10:11], v[124:125], v[10:11]
	v_fma_f64 v[124:125], v[26:27], s[8:9], v[142:143]
	v_add_f64 v[128:129], v[150:151], v[128:129]
	v_fma_f64 v[134:135], v[90:91], s[18:19], v[134:135]
	v_add_f64 v[6:7], v[6:7], v[120:121]
	v_fma_f64 v[138:139], v[44:45], s[22:23], -v[138:139]
	v_add_f64 v[120:121], v[140:141], v[126:127]
	v_fma_f64 v[126:127], v[112:113], s[8:9], -v[136:137]
	v_add_f64 v[130:131], v[130:131], v[10:11]
	v_add_f64 v[10:11], v[8:9], v[118:119]
	;; [unrolled: 1-line block ×3, first 2 shown]
	v_fma_f64 v[118:119], v[80:81], s[22:23], v[144:145]
	v_add_f64 v[134:135], v[134:135], v[6:7]
	v_add_f64 v[8:9], v[122:123], v[4:5]
	;; [unrolled: 1-line block ×3, first 2 shown]
	v_fma_f64 v[120:121], v[42:43], s[24:25], -v[132:133]
	v_mul_f64 v[124:125], v[116:117], s[14:15]
	v_mul_f64 v[132:133], v[108:109], s[14:15]
	v_add_f64 v[4:5], v[126:127], v[128:129]
	v_add_f64 v[122:123], v[138:139], v[130:131]
	v_fma_f64 v[126:127], v[48:49], s[24:25], v[148:149]
	v_add_f64 v[118:119], v[118:119], v[134:135]
	v_mul_f64 v[128:129], v[114:115], s[40:41]
	v_mul_f64 v[138:139], v[106:107], s[40:41]
	v_fma_f64 v[134:135], v[74:75], s[8:9], v[124:125]
	v_fma_f64 v[140:141], v[100:101], s[8:9], -v[132:133]
	v_mul_f64 v[146:147], v[110:111], s[26:27]
	v_add_f64 v[120:121], v[120:121], v[122:123]
	v_fma_f64 v[122:123], v[112:113], s[8:9], v[136:137]
	v_add_f64 v[118:119], v[126:127], v[118:119]
	v_mul_f64 v[126:127], v[96:97], s[26:27]
	v_fma_f64 v[136:137], v[50:51], s[16:17], v[128:129]
	v_add_f64 v[134:135], v[14:15], v[134:135]
	v_fma_f64 v[148:149], v[98:99], s[16:17], -v[138:139]
	v_add_f64 v[140:141], v[12:13], v[140:141]
	v_fma_f64 v[130:131], v[26:27], s[8:9], -v[142:143]
	v_mul_f64 v[142:143], v[86:87], s[38:39]
	v_fma_f64 v[124:125], v[74:75], s[8:9], -v[124:125]
	v_fma_f64 v[144:145], v[46:47], s[24:25], v[126:127]
	v_mul_f64 v[154:155], v[104:105], s[38:39]
	v_add_f64 v[134:135], v[136:137], v[134:135]
	v_fma_f64 v[156:157], v[90:91], s[24:25], -v[146:147]
	v_add_f64 v[140:141], v[148:149], v[140:141]
	v_mul_f64 v[150:151], v[78:79], s[42:43]
	v_fma_f64 v[152:153], v[44:45], s[6:7], v[142:143]
	v_fma_f64 v[128:129], v[50:51], s[16:17], -v[128:129]
	v_add_f64 v[124:125], v[14:15], v[124:125]
	v_mul_f64 v[148:149], v[92:93], s[42:43]
	v_add_f64 v[134:135], v[144:145], v[134:135]
	v_fma_f64 v[158:159], v[80:81], s[6:7], -v[154:155]
	v_fma_f64 v[132:133], v[100:101], s[8:9], v[132:133]
	v_add_f64 v[140:141], v[156:157], v[140:141]
	v_mul_f64 v[136:137], v[70:71], s[36:37]
	v_fma_f64 v[144:145], v[42:43], s[22:23], v[150:151]
	v_fma_f64 v[126:127], v[46:47], s[24:25], -v[126:127]
	v_add_f64 v[124:125], v[128:129], v[124:125]
	v_add_f64 v[134:135], v[152:153], v[134:135]
	v_mul_f64 v[128:129], v[88:89], s[36:37]
	v_fma_f64 v[152:153], v[48:49], s[22:23], -v[148:149]
	v_fma_f64 v[138:139], v[98:99], s[16:17], v[138:139]
	v_add_f64 v[132:133], v[12:13], v[132:133]
	v_add_f64 v[140:141], v[158:159], v[140:141]
	v_fma_f64 v[156:157], v[26:27], s[18:19], v[136:137]
	v_fma_f64 v[142:143], v[44:45], s[6:7], -v[142:143]
	v_add_f64 v[124:125], v[126:127], v[124:125]
	v_add_f64 v[126:127], v[144:145], v[134:135]
	v_fma_f64 v[134:135], v[112:113], s[18:19], -v[128:129]
	v_fma_f64 v[144:145], v[90:91], s[24:25], v[146:147]
	v_add_f64 v[132:133], v[138:139], v[132:133]
	v_add_f64 v[138:139], v[152:153], v[140:141]
	;; [unrolled: 1-line block ×6, first 2 shown]
	v_fma_f64 v[126:127], v[80:81], s[6:7], v[154:155]
	v_fma_f64 v[130:131], v[42:43], s[22:23], -v[150:151]
	v_add_f64 v[132:133], v[144:145], v[132:133]
	v_add_f64 v[122:123], v[134:135], v[138:139]
	v_mul_f64 v[134:135], v[116:117], s[38:39]
	v_mul_f64 v[138:139], v[108:109], s[38:39]
	s_mov_b32 s37, 0x3fedeba7
	s_mov_b32 s36, s14
	v_mul_f64 v[144:145], v[106:107], s[28:29]
	v_add_f64 v[130:131], v[130:131], v[140:141]
	v_add_f64 v[126:127], v[126:127], v[132:133]
	v_mul_f64 v[132:133], v[114:115], s[28:29]
	v_fma_f64 v[142:143], v[74:75], s[6:7], v[134:135]
	v_fma_f64 v[140:141], v[112:113], s[18:19], v[128:129]
	;; [unrolled: 1-line block ×3, first 2 shown]
	v_fma_f64 v[146:147], v[100:101], s[6:7], -v[138:139]
	v_mul_f64 v[148:149], v[96:97], s[36:37]
	v_fma_f64 v[134:135], v[74:75], s[6:7], -v[134:135]
	v_mul_f64 v[152:153], v[110:111], s[36:37]
	v_fma_f64 v[150:151], v[50:51], s[22:23], v[132:133]
	v_add_f64 v[142:143], v[14:15], v[142:143]
	v_fma_f64 v[154:155], v[98:99], s[22:23], -v[144:145]
	v_mul_f64 v[156:157], v[86:87], s[26:27]
	v_add_f64 v[146:147], v[12:13], v[146:147]
	v_fma_f64 v[132:133], v[50:51], s[22:23], -v[132:133]
	v_add_f64 v[134:135], v[14:15], v[134:135]
	v_fma_f64 v[158:159], v[46:47], s[8:9], v[148:149]
	v_fma_f64 v[160:161], v[90:91], s[8:9], -v[152:153]
	v_add_f64 v[142:143], v[150:151], v[142:143]
	v_mul_f64 v[150:151], v[104:105], s[26:27]
	v_fma_f64 v[148:149], v[46:47], s[8:9], -v[148:149]
	v_add_f64 v[146:147], v[154:155], v[146:147]
	v_mul_f64 v[154:155], v[78:79], s[34:35]
	v_add_f64 v[132:133], v[132:133], v[134:135]
	v_fma_f64 v[134:135], v[44:45], s[24:25], v[156:157]
	v_fma_f64 v[156:157], v[44:45], s[24:25], -v[156:157]
	v_add_f64 v[142:143], v[158:159], v[142:143]
	v_mul_f64 v[158:159], v[92:93], s[34:35]
	v_fma_f64 v[162:163], v[80:81], s[24:25], -v[150:151]
	v_add_f64 v[146:147], v[160:161], v[146:147]
	v_mul_f64 v[160:161], v[70:71], s[20:21]
	v_add_f64 v[132:133], v[148:149], v[132:133]
	v_fma_f64 v[148:149], v[42:43], s[18:19], v[154:155]
	v_fma_f64 v[136:137], v[26:27], s[18:19], -v[136:137]
	v_add_f64 v[134:135], v[134:135], v[142:143]
	v_mul_f64 v[142:143], v[88:89], s[20:21]
	v_fma_f64 v[164:165], v[48:49], s[18:19], -v[158:159]
	v_add_f64 v[146:147], v[162:163], v[146:147]
	v_add_f64 v[126:127], v[128:129], v[126:127]
	v_fma_f64 v[154:155], v[42:43], s[18:19], -v[154:155]
	v_add_f64 v[132:133], v[156:157], v[132:133]
	v_fma_f64 v[156:157], v[26:27], s[16:17], v[160:161]
	v_add_f64 v[134:135], v[148:149], v[134:135]
	v_mul_f64 v[148:149], v[116:117], s[34:35]
	v_add_f64 v[128:129], v[136:137], v[130:131]
	v_fma_f64 v[130:131], v[112:113], s[16:17], -v[142:143]
	v_add_f64 v[136:137], v[164:165], v[146:147]
	v_fma_f64 v[146:147], v[26:27], s[16:17], -v[160:161]
	v_add_f64 v[154:155], v[154:155], v[132:133]
	v_add_f64 v[126:127], v[140:141], v[126:127]
	;; [unrolled: 1-line block ×3, first 2 shown]
	v_mul_f64 v[134:135], v[108:109], s[34:35]
	v_fma_f64 v[138:139], v[100:101], s[6:7], v[138:139]
	v_mul_f64 v[140:141], v[114:115], s[14:15]
	v_fma_f64 v[156:157], v[74:75], s[18:19], v[148:149]
	v_add_f64 v[130:131], v[130:131], v[136:137]
	v_add_f64 v[136:137], v[146:147], v[154:155]
	v_fma_f64 v[144:145], v[98:99], s[22:23], v[144:145]
	v_mul_f64 v[146:147], v[106:107], s[14:15]
	v_fma_f64 v[154:155], v[100:101], s[18:19], -v[134:135]
	v_add_f64 v[138:139], v[12:13], v[138:139]
	v_mul_f64 v[160:161], v[96:97], s[28:29]
	v_fma_f64 v[162:163], v[50:51], s[8:9], v[140:141]
	v_add_f64 v[156:157], v[14:15], v[156:157]
	v_fma_f64 v[152:153], v[90:91], s[8:9], v[152:153]
	v_fma_f64 v[150:151], v[80:81], s[24:25], v[150:151]
	v_fma_f64 v[166:167], v[98:99], s[8:9], -v[146:147]
	v_add_f64 v[154:155], v[12:13], v[154:155]
	v_add_f64 v[138:139], v[144:145], v[138:139]
	v_mul_f64 v[144:145], v[86:87], s[40:41]
	v_fma_f64 v[168:169], v[46:47], s[22:23], v[160:161]
	v_add_f64 v[156:157], v[162:163], v[156:157]
	v_fma_f64 v[148:149], v[74:75], s[18:19], -v[148:149]
	v_add_f64 v[102:103], v[14:15], v[102:103]
	v_add_f64 v[94:95], v[12:13], v[94:95]
	;; [unrolled: 1-line block ×4, first 2 shown]
	v_fma_f64 v[166:167], v[44:45], s[16:17], v[144:145]
	v_fma_f64 v[140:141], v[50:51], s[8:9], -v[140:141]
	v_add_f64 v[156:157], v[168:169], v[156:157]
	v_add_f64 v[148:149], v[14:15], v[148:149]
	v_fma_f64 v[134:135], v[100:101], s[18:19], v[134:135]
	v_add_f64 v[84:85], v[102:103], v[84:85]
	v_add_f64 v[82:83], v[94:95], v[82:83]
	;; [unrolled: 1-line block ×3, first 2 shown]
	v_mul_f64 v[150:151], v[70:71], s[26:27]
	v_mul_f64 v[164:165], v[110:111], s[28:29]
	v_add_f64 v[156:157], v[166:167], v[156:157]
	v_mul_f64 v[166:167], v[88:89], s[26:27]
	s_mov_b32 s27, 0xbfddbe06
	v_mul_f64 v[116:117], v[116:117], s[26:27]
	v_fma_f64 v[160:161], v[46:47], s[22:23], -v[160:161]
	v_add_f64 v[140:141], v[140:141], v[148:149]
	v_fma_f64 v[146:147], v[98:99], s[8:9], v[146:147]
	v_add_f64 v[134:135], v[12:13], v[134:135]
	v_mul_f64 v[114:115], v[114:115], s[34:35]
	v_add_f64 v[76:77], v[84:85], v[76:77]
	v_add_f64 v[72:73], v[82:83], v[72:73]
	v_fma_f64 v[148:149], v[74:75], s[24:25], v[116:117]
	v_mul_f64 v[162:163], v[104:105], s[40:41]
	v_fma_f64 v[170:171], v[90:91], s[22:23], -v[164:165]
	v_mul_f64 v[152:153], v[78:79], s[30:31]
	v_fma_f64 v[144:145], v[44:45], s[16:17], -v[144:145]
	v_add_f64 v[140:141], v[160:161], v[140:141]
	v_fma_f64 v[160:161], v[90:91], s[22:23], v[164:165]
	v_add_f64 v[134:135], v[146:147], v[134:135]
	v_mul_f64 v[96:97], v[96:97], s[38:39]
	v_fma_f64 v[146:147], v[50:51], s[18:19], v[114:115]
	v_add_f64 v[148:149], v[14:15], v[148:149]
	v_add_f64 v[62:63], v[76:77], v[62:63]
	;; [unrolled: 1-line block ×3, first 2 shown]
	v_fma_f64 v[158:159], v[48:49], s[18:19], v[158:159]
	v_mul_f64 v[168:169], v[92:93], s[30:31]
	v_add_f64 v[154:155], v[170:171], v[154:155]
	v_fma_f64 v[170:171], v[42:43], s[6:7], v[152:153]
	v_fma_f64 v[152:153], v[42:43], s[6:7], -v[152:153]
	v_add_f64 v[94:95], v[144:145], v[140:141]
	v_fma_f64 v[102:103], v[80:81], s[16:17], v[162:163]
	v_add_f64 v[134:135], v[160:161], v[134:135]
	v_mul_f64 v[86:87], v[86:87], s[14:15]
	v_fma_f64 v[140:141], v[46:47], s[6:7], v[96:97]
	v_add_f64 v[144:145], v[146:147], v[148:149]
	v_add_f64 v[58:59], v[62:63], v[58:59]
	;; [unrolled: 1-line block ×4, first 2 shown]
	v_fma_f64 v[158:159], v[26:27], s[24:25], v[150:151]
	v_fma_f64 v[150:151], v[26:27], s[24:25], -v[150:151]
	v_add_f64 v[82:83], v[152:153], v[94:95]
	v_fma_f64 v[84:85], v[48:49], s[6:7], v[168:169]
	v_add_f64 v[94:95], v[102:103], v[134:135]
	v_fma_f64 v[102:103], v[44:45], s[8:9], v[86:87]
	v_add_f64 v[134:135], v[140:141], v[144:145]
	v_mul_f64 v[62:63], v[108:109], s[26:27]
	v_add_f64 v[54:55], v[58:59], v[54:55]
	v_add_f64 v[52:53], v[56:57], v[52:53]
	;; [unrolled: 1-line block ×3, first 2 shown]
	v_fma_f64 v[74:75], v[74:75], s[24:25], -v[116:117]
	v_add_f64 v[82:83], v[84:85], v[94:95]
	v_mul_f64 v[58:59], v[110:111], s[38:39]
	v_add_f64 v[94:95], v[102:103], v[134:135]
	v_mul_f64 v[102:103], v[106:107], s[34:35]
	v_fma_f64 v[56:57], v[100:101], s[24:25], v[62:63]
	v_fma_f64 v[62:63], v[100:101], s[24:25], -v[62:63]
	v_add_f64 v[38:39], v[54:55], v[38:39]
	v_add_f64 v[40:41], v[52:53], v[40:41]
	v_fma_f64 v[50:51], v[50:51], s[18:19], -v[114:115]
	v_add_f64 v[14:15], v[14:15], v[74:75]
	v_mul_f64 v[72:73], v[88:89], s[28:29]
	v_fma_f64 v[74:75], v[98:99], s[18:19], v[102:103]
	v_add_f64 v[52:53], v[12:13], v[56:57]
	v_fma_f64 v[54:55], v[98:99], s[18:19], -v[102:103]
	v_add_f64 v[12:13], v[12:13], v[62:63]
	v_add_f64 v[34:35], v[38:39], v[34:35]
	;; [unrolled: 1-line block ×3, first 2 shown]
	v_mul_f64 v[88:89], v[92:93], s[20:21]
	v_mul_f64 v[92:93], v[104:105], s[14:15]
	v_fma_f64 v[46:47], v[46:47], s[6:7], -v[96:97]
	v_add_f64 v[14:15], v[50:51], v[14:15]
	v_fma_f64 v[50:51], v[90:91], s[6:7], v[58:59]
	v_add_f64 v[38:39], v[74:75], v[52:53]
	v_fma_f64 v[40:41], v[90:91], s[6:7], -v[58:59]
	v_add_f64 v[12:13], v[54:55], v[12:13]
	v_add_f64 v[30:31], v[34:35], v[30:31]
	;; [unrolled: 1-line block ×3, first 2 shown]
	v_mul_f64 v[78:79], v[78:79], s[20:21]
	v_fma_f64 v[44:45], v[44:45], s[8:9], -v[86:87]
	v_add_f64 v[14:15], v[46:47], v[14:15]
	v_fma_f64 v[46:47], v[80:81], s[8:9], v[92:93]
	v_add_f64 v[34:35], v[50:51], v[38:39]
	v_fma_f64 v[172:173], v[80:81], s[16:17], -v[162:163]
	v_fma_f64 v[36:37], v[80:81], s[8:9], -v[92:93]
	v_add_f64 v[12:13], v[40:41], v[12:13]
	v_add_f64 v[28:29], v[30:31], v[28:29]
	;; [unrolled: 1-line block ×3, first 2 shown]
	v_mul_f64 v[70:71], v[70:71], s[28:29]
	v_fma_f64 v[38:39], v[42:43], s[16:17], -v[78:79]
	v_add_f64 v[14:15], v[44:45], v[14:15]
	v_fma_f64 v[40:41], v[48:49], s[16:17], v[88:89]
	v_add_f64 v[30:31], v[46:47], v[34:35]
	v_fma_f64 v[174:175], v[48:49], s[6:7], -v[168:169]
	v_add_f64 v[154:155], v[172:173], v[154:155]
	v_fma_f64 v[84:85], v[42:43], s[16:17], v[78:79]
	v_fma_f64 v[32:33], v[48:49], s[16:17], -v[88:89]
	v_add_f64 v[12:13], v[36:37], v[12:13]
	v_add_f64 v[22:23], v[28:29], v[22:23]
	;; [unrolled: 1-line block ×3, first 2 shown]
	v_fma_f64 v[34:35], v[26:27], s[22:23], -v[70:71]
	v_add_f64 v[14:15], v[38:39], v[14:15]
	v_fma_f64 v[36:37], v[112:113], s[22:23], v[72:73]
	v_add_f64 v[24:25], v[40:41], v[30:31]
	v_fma_f64 v[76:77], v[112:113], s[24:25], v[166:167]
	v_fma_f64 v[142:143], v[112:113], s[16:17], v[142:143]
	v_add_f64 v[156:157], v[170:171], v[156:157]
	v_fma_f64 v[170:171], v[112:113], s[24:25], -v[166:167]
	v_add_f64 v[154:155], v[174:175], v[154:155]
	v_fma_f64 v[26:27], v[26:27], s[22:23], v[70:71]
	v_add_f64 v[28:29], v[84:85], v[94:95]
	v_fma_f64 v[30:31], v[112:113], s[22:23], -v[72:73]
	v_add_f64 v[32:33], v[32:33], v[12:13]
	v_add_f64 v[18:19], v[22:23], v[18:19]
	;; [unrolled: 1-line block ×11, first 2 shown]
	ds_write_b128 v214, v[16:19]
	ds_write_b128 v214, v[12:15] offset:2080
	ds_write_b128 v214, v[58:61] offset:4160
	ds_write_b128 v214, v[134:137] offset:6240
	ds_write_b128 v214, v[126:129] offset:8320
	ds_write_b128 v214, v[118:121] offset:10400
	ds_write_b128 v214, v[8:11] offset:12480
	ds_write_b128 v214, v[0:3] offset:14560
	ds_write_b128 v214, v[4:7] offset:16640
	ds_write_b128 v214, v[122:125] offset:18720
	ds_write_b128 v214, v[130:133] offset:20800
	ds_write_b128 v214, v[20:23] offset:22880
	ds_write_b128 v214, v[24:27] offset:24960
.LBB0_19:
	s_or_b64 exec, exec, s[4:5]
	s_waitcnt lgkmcnt(0)
	s_barrier
	ds_read_b128 v[4:7], v214
	s_add_u32 s6, s12, 0x68d0
	v_lshlrev_b32_e32 v0, 4, v66
	s_addc_u32 s7, s13, 0
	v_sub_u32_e32 v14, 0, v0
	v_cmp_ne_u32_e32 vcc, 0, v66
                                        ; implicit-def: $vgpr0_vgpr1
                                        ; implicit-def: $vgpr8_vgpr9
                                        ; implicit-def: $vgpr10_vgpr11
                                        ; implicit-def: $vgpr12_vgpr13
	s_and_saveexec_b64 s[4:5], vcc
	s_xor_b64 s[4:5], exec, s[4:5]
	s_cbranch_execz .LBB0_21
; %bb.20:
	v_mov_b32_e32 v67, 0
	v_lshlrev_b64 v[0:1], 4, v[66:67]
	v_mov_b32_e32 v2, s7
	v_add_co_u32_e32 v0, vcc, s6, v0
	v_addc_co_u32_e32 v1, vcc, v2, v1, vcc
	global_load_dwordx4 v[15:18], v[0:1], off
	ds_read_b128 v[0:3], v14 offset:27040
	s_waitcnt lgkmcnt(0)
	v_add_f64 v[8:9], v[4:5], -v[0:1]
	v_add_f64 v[10:11], v[6:7], v[2:3]
	v_add_f64 v[2:3], v[6:7], -v[2:3]
	v_add_f64 v[0:1], v[4:5], v[0:1]
	v_mul_f64 v[6:7], v[8:9], 0.5
	v_mul_f64 v[4:5], v[10:11], 0.5
	;; [unrolled: 1-line block ×3, first 2 shown]
	s_waitcnt vmcnt(0)
	v_mul_f64 v[8:9], v[6:7], v[17:18]
	v_fma_f64 v[10:11], v[4:5], v[17:18], v[2:3]
	v_fma_f64 v[2:3], v[4:5], v[17:18], -v[2:3]
	v_fma_f64 v[12:13], v[0:1], 0.5, v[8:9]
	v_fma_f64 v[0:1], v[0:1], 0.5, -v[8:9]
	v_fma_f64 v[10:11], -v[15:16], v[6:7], v[10:11]
	v_fma_f64 v[2:3], -v[15:16], v[6:7], v[2:3]
	v_fma_f64 v[8:9], v[4:5], v[15:16], v[12:13]
	v_mov_b32_e32 v12, v66
	v_fma_f64 v[0:1], -v[4:5], v[15:16], v[0:1]
	v_mov_b32_e32 v13, v67
                                        ; implicit-def: $vgpr4_vgpr5
.LBB0_21:
	s_andn2_saveexec_b64 s[4:5], s[4:5]
	s_cbranch_execz .LBB0_23
; %bb.22:
	s_waitcnt lgkmcnt(0)
	v_add_f64 v[8:9], v[4:5], v[6:7]
	v_add_f64 v[0:1], v[4:5], -v[6:7]
	v_mov_b32_e32 v4, 0
	ds_read_b64 v[2:3], v4 offset:13528
	v_mov_b32_e32 v10, 0
	v_mov_b32_e32 v12, 0
	;; [unrolled: 1-line block ×4, first 2 shown]
	s_waitcnt lgkmcnt(0)
	v_xor_b32_e32 v3, 0x80000000, v3
	ds_write_b64 v4, v[2:3] offset:13528
	v_mov_b32_e32 v2, v10
	v_mov_b32_e32 v3, v11
.LBB0_23:
	s_or_b64 exec, exec, s[4:5]
	s_waitcnt lgkmcnt(0)
	v_lshlrev_b64 v[4:5], 4, v[12:13]
	v_mov_b32_e32 v6, s7
	v_add_co_u32_e32 v12, vcc, s6, v4
	v_addc_co_u32_e32 v13, vcc, v6, v5, vcc
	global_load_dwordx4 v[4:7], v[12:13], off offset:2704
	s_movk_i32 s4, 0x1000
	v_add_co_u32_e32 v19, vcc, s4, v12
	v_addc_co_u32_e32 v20, vcc, 0, v13, vcc
	global_load_dwordx4 v[15:18], v[19:20], off offset:1312
	ds_write2_b64 v214, v[8:9], v[10:11] offset1:1
	ds_write_b128 v14, v[0:3] offset:27040
	ds_read_b128 v[0:3], v214 offset:2704
	ds_read_b128 v[8:11], v14 offset:24336
	s_movk_i32 s4, 0x2000
	s_waitcnt lgkmcnt(0)
	v_add_f64 v[21:22], v[0:1], -v[8:9]
	v_add_f64 v[23:24], v[2:3], v[10:11]
	v_add_f64 v[2:3], v[2:3], -v[10:11]
	v_add_f64 v[0:1], v[0:1], v[8:9]
	v_mul_f64 v[10:11], v[21:22], 0.5
	v_mul_f64 v[21:22], v[23:24], 0.5
	;; [unrolled: 1-line block ×3, first 2 shown]
	s_waitcnt vmcnt(1)
	v_mul_f64 v[8:9], v[10:11], v[6:7]
	v_fma_f64 v[23:24], v[21:22], v[6:7], v[2:3]
	v_fma_f64 v[6:7], v[21:22], v[6:7], -v[2:3]
	v_fma_f64 v[25:26], v[0:1], 0.5, v[8:9]
	v_fma_f64 v[8:9], v[0:1], 0.5, -v[8:9]
	global_load_dwordx4 v[0:3], v[19:20], off offset:4016
	v_fma_f64 v[19:20], -v[4:5], v[10:11], v[23:24]
	v_fma_f64 v[6:7], -v[4:5], v[10:11], v[6:7]
	v_fma_f64 v[10:11], v[21:22], v[4:5], v[25:26]
	v_fma_f64 v[4:5], -v[21:22], v[4:5], v[8:9]
	v_add_u32_e32 v8, 0x800, v214
	ds_write2_b64 v8, v[10:11], v[19:20] offset0:82 offset1:83
	ds_write_b128 v14, v[4:7] offset:24336
	ds_read_b128 v[4:7], v214 offset:5408
	ds_read_b128 v[8:11], v14 offset:21632
	s_waitcnt lgkmcnt(0)
	v_add_f64 v[19:20], v[4:5], -v[8:9]
	v_add_f64 v[21:22], v[6:7], v[10:11]
	v_add_f64 v[6:7], v[6:7], -v[10:11]
	v_add_f64 v[4:5], v[4:5], v[8:9]
	v_mul_f64 v[10:11], v[19:20], 0.5
	v_mul_f64 v[19:20], v[21:22], 0.5
	;; [unrolled: 1-line block ×3, first 2 shown]
	s_waitcnt vmcnt(1)
	v_mul_f64 v[8:9], v[10:11], v[17:18]
	v_fma_f64 v[21:22], v[19:20], v[17:18], v[6:7]
	v_fma_f64 v[17:18], v[19:20], v[17:18], -v[6:7]
	v_fma_f64 v[23:24], v[4:5], 0.5, v[8:9]
	v_fma_f64 v[8:9], v[4:5], 0.5, -v[8:9]
	v_add_co_u32_e32 v4, vcc, s4, v12
	v_addc_co_u32_e32 v5, vcc, 0, v13, vcc
	global_load_dwordx4 v[4:7], v[4:5], off offset:2624
	v_fma_f64 v[12:13], -v[15:16], v[10:11], v[21:22]
	v_fma_f64 v[10:11], -v[15:16], v[10:11], v[17:18]
	v_fma_f64 v[17:18], v[19:20], v[15:16], v[23:24]
	v_fma_f64 v[8:9], -v[19:20], v[15:16], v[8:9]
	v_add_u32_e32 v15, 0x1000, v214
	ds_write2_b64 v15, v[17:18], v[12:13] offset0:164 offset1:165
	ds_write_b128 v14, v[8:11] offset:21632
	ds_read_b128 v[8:11], v214 offset:8112
	ds_read_b128 v[15:18], v14 offset:18928
	s_waitcnt lgkmcnt(0)
	v_add_f64 v[12:13], v[8:9], -v[15:16]
	v_add_f64 v[19:20], v[10:11], v[17:18]
	v_add_f64 v[10:11], v[10:11], -v[17:18]
	v_add_f64 v[8:9], v[8:9], v[15:16]
	v_mul_f64 v[12:13], v[12:13], 0.5
	v_mul_f64 v[17:18], v[19:20], 0.5
	;; [unrolled: 1-line block ×3, first 2 shown]
	s_waitcnt vmcnt(1)
	v_mul_f64 v[15:16], v[12:13], v[2:3]
	v_fma_f64 v[19:20], v[17:18], v[2:3], v[10:11]
	v_fma_f64 v[2:3], v[17:18], v[2:3], -v[10:11]
	v_fma_f64 v[10:11], v[8:9], 0.5, v[15:16]
	v_fma_f64 v[8:9], v[8:9], 0.5, -v[15:16]
	v_fma_f64 v[15:16], -v[0:1], v[12:13], v[19:20]
	v_fma_f64 v[2:3], -v[0:1], v[12:13], v[2:3]
	v_fma_f64 v[10:11], v[17:18], v[0:1], v[10:11]
	v_fma_f64 v[0:1], -v[17:18], v[0:1], v[8:9]
	v_add_u32_e32 v8, 0x1800, v214
	ds_write2_b64 v8, v[10:11], v[15:16] offset0:246 offset1:247
	ds_write_b128 v14, v[0:3] offset:18928
	ds_read_b128 v[0:3], v214 offset:10816
	ds_read_b128 v[8:11], v14 offset:16224
	s_waitcnt lgkmcnt(0)
	v_add_f64 v[12:13], v[0:1], -v[8:9]
	v_add_f64 v[15:16], v[2:3], v[10:11]
	v_add_f64 v[2:3], v[2:3], -v[10:11]
	v_add_f64 v[0:1], v[0:1], v[8:9]
	v_mul_f64 v[10:11], v[12:13], 0.5
	v_mul_f64 v[12:13], v[15:16], 0.5
	;; [unrolled: 1-line block ×3, first 2 shown]
	s_waitcnt vmcnt(0)
	v_mul_f64 v[8:9], v[10:11], v[6:7]
	v_fma_f64 v[15:16], v[12:13], v[6:7], v[2:3]
	v_fma_f64 v[2:3], v[12:13], v[6:7], -v[2:3]
	v_fma_f64 v[6:7], v[0:1], 0.5, v[8:9]
	v_fma_f64 v[0:1], v[0:1], 0.5, -v[8:9]
	v_fma_f64 v[8:9], -v[4:5], v[10:11], v[15:16]
	v_fma_f64 v[2:3], -v[4:5], v[10:11], v[2:3]
	v_fma_f64 v[6:7], v[12:13], v[4:5], v[6:7]
	v_fma_f64 v[0:1], -v[12:13], v[4:5], v[0:1]
	v_add_u32_e32 v4, 0x2800, v214
	ds_write2_b64 v4, v[6:7], v[8:9] offset0:72 offset1:73
	ds_write_b128 v14, v[0:3] offset:16224
	s_waitcnt lgkmcnt(0)
	s_barrier
	s_and_saveexec_b64 s[4:5], s[0:1]
	s_cbranch_execz .LBB0_26
; %bb.24:
	v_mul_lo_u32 v2, s3, v68
	v_mul_lo_u32 v3, s2, v69
	v_mad_u64_u32 v[0:1], s[0:1], s2, v68, 0
	v_mov_b32_e32 v6, s11
	v_lshl_add_u32 v12, v66, 4, 0
	v_add3_u32 v1, v1, v3, v2
	v_lshlrev_b64 v[0:1], 4, v[0:1]
	v_mov_b32_e32 v67, 0
	v_add_co_u32_e32 v0, vcc, s10, v0
	v_addc_co_u32_e32 v8, vcc, v6, v1, vcc
	v_lshlrev_b64 v[6:7], 4, v[64:65]
	ds_read_b128 v[2:5], v12
	v_add_co_u32_e32 v1, vcc, v0, v6
	v_addc_co_u32_e32 v0, vcc, v8, v7, vcc
	v_lshlrev_b64 v[6:7], 4, v[66:67]
	s_movk_i32 s0, 0xa8
	v_add_co_u32_e32 v10, vcc, v1, v6
	v_addc_co_u32_e32 v11, vcc, v0, v7, vcc
	ds_read_b128 v[6:9], v12 offset:2704
	s_waitcnt lgkmcnt(1)
	global_store_dwordx4 v[10:11], v[2:5], off
	s_nop 0
	v_add_u32_e32 v2, 0xa9, v66
	v_mov_b32_e32 v3, v67
	v_lshlrev_b64 v[2:3], 4, v[2:3]
	v_add_co_u32_e32 v2, vcc, v1, v2
	v_addc_co_u32_e32 v3, vcc, v0, v3, vcc
	s_waitcnt lgkmcnt(0)
	global_store_dwordx4 v[2:3], v[6:9], off
	ds_read_b128 v[2:5], v12 offset:5408
	v_add_u32_e32 v6, 0x152, v66
	v_mov_b32_e32 v7, v67
	v_lshlrev_b64 v[6:7], 4, v[6:7]
	v_add_co_u32_e32 v10, vcc, v1, v6
	v_addc_co_u32_e32 v11, vcc, v0, v7, vcc
	ds_read_b128 v[6:9], v12 offset:8112
	s_waitcnt lgkmcnt(1)
	global_store_dwordx4 v[10:11], v[2:5], off
	s_nop 0
	v_add_u32_e32 v2, 0x1fb, v66
	v_mov_b32_e32 v3, v67
	v_lshlrev_b64 v[2:3], 4, v[2:3]
	v_add_co_u32_e32 v2, vcc, v1, v2
	v_addc_co_u32_e32 v3, vcc, v0, v3, vcc
	s_waitcnt lgkmcnt(0)
	global_store_dwordx4 v[2:3], v[6:9], off
	ds_read_b128 v[2:5], v12 offset:10816
	v_add_u32_e32 v6, 0x2a4, v66
	v_mov_b32_e32 v7, v67
	v_lshlrev_b64 v[6:7], 4, v[6:7]
	v_add_co_u32_e32 v10, vcc, v1, v6
	v_addc_co_u32_e32 v11, vcc, v0, v7, vcc
	ds_read_b128 v[6:9], v12 offset:13520
	s_waitcnt lgkmcnt(1)
	global_store_dwordx4 v[10:11], v[2:5], off
	s_nop 0
	v_add_u32_e32 v2, 0x34d, v66
	v_mov_b32_e32 v3, v67
	v_lshlrev_b64 v[2:3], 4, v[2:3]
	v_add_co_u32_e32 v2, vcc, v1, v2
	v_addc_co_u32_e32 v3, vcc, v0, v3, vcc
	s_waitcnt lgkmcnt(0)
	global_store_dwordx4 v[2:3], v[6:9], off
	ds_read_b128 v[2:5], v12 offset:16224
	v_add_u32_e32 v6, 0x3f6, v66
	v_mov_b32_e32 v7, v67
	v_lshlrev_b64 v[6:7], 4, v[6:7]
	v_add_co_u32_e32 v10, vcc, v1, v6
	v_addc_co_u32_e32 v11, vcc, v0, v7, vcc
	ds_read_b128 v[6:9], v12 offset:18928
	s_waitcnt lgkmcnt(1)
	global_store_dwordx4 v[10:11], v[2:5], off
	s_nop 0
	v_add_u32_e32 v2, 0x49f, v66
	v_mov_b32_e32 v3, v67
	v_lshlrev_b64 v[2:3], 4, v[2:3]
	v_add_co_u32_e32 v2, vcc, v1, v2
	v_addc_co_u32_e32 v3, vcc, v0, v3, vcc
	s_waitcnt lgkmcnt(0)
	global_store_dwordx4 v[2:3], v[6:9], off
	ds_read_b128 v[2:5], v12 offset:21632
	v_add_u32_e32 v6, 0x548, v66
	v_mov_b32_e32 v7, v67
	v_lshlrev_b64 v[6:7], 4, v[6:7]
	v_add_co_u32_e32 v10, vcc, v1, v6
	v_addc_co_u32_e32 v11, vcc, v0, v7, vcc
	ds_read_b128 v[6:9], v12 offset:24336
	s_waitcnt lgkmcnt(1)
	global_store_dwordx4 v[10:11], v[2:5], off
	s_nop 0
	v_add_u32_e32 v2, 0x5f1, v66
	v_mov_b32_e32 v3, v67
	v_lshlrev_b64 v[2:3], 4, v[2:3]
	v_add_co_u32_e32 v2, vcc, v1, v2
	v_addc_co_u32_e32 v3, vcc, v0, v3, vcc
	v_cmp_eq_u32_e32 vcc, s0, v66
	s_waitcnt lgkmcnt(0)
	global_store_dwordx4 v[2:3], v[6:9], off
	s_and_b64 exec, exec, vcc
	s_cbranch_execz .LBB0_26
; %bb.25:
	ds_read_b128 v[2:5], v67 offset:27040
	v_add_co_u32_e32 v6, vcc, 0x6000, v1
	v_addc_co_u32_e32 v7, vcc, 0, v0, vcc
	s_waitcnt lgkmcnt(0)
	global_store_dwordx4 v[6:7], v[2:5], off offset:2464
.LBB0_26:
	s_endpgm
	.section	.rodata,"a",@progbits
	.p2align	6, 0x0
	.amdhsa_kernel fft_rtc_back_len1690_factors_13_10_13_wgs_169_tpt_169_dp_op_CI_CI_unitstride_sbrr_R2C_dirReg
		.amdhsa_group_segment_fixed_size 0
		.amdhsa_private_segment_fixed_size 20
		.amdhsa_kernarg_size 104
		.amdhsa_user_sgpr_count 6
		.amdhsa_user_sgpr_private_segment_buffer 1
		.amdhsa_user_sgpr_dispatch_ptr 0
		.amdhsa_user_sgpr_queue_ptr 0
		.amdhsa_user_sgpr_kernarg_segment_ptr 1
		.amdhsa_user_sgpr_dispatch_id 0
		.amdhsa_user_sgpr_flat_scratch_init 0
		.amdhsa_user_sgpr_private_segment_size 0
		.amdhsa_uses_dynamic_stack 0
		.amdhsa_system_sgpr_private_segment_wavefront_offset 1
		.amdhsa_system_sgpr_workgroup_id_x 1
		.amdhsa_system_sgpr_workgroup_id_y 0
		.amdhsa_system_sgpr_workgroup_id_z 0
		.amdhsa_system_sgpr_workgroup_info 0
		.amdhsa_system_vgpr_workitem_id 0
		.amdhsa_next_free_vgpr 255
		.amdhsa_next_free_sgpr 48
		.amdhsa_reserve_vcc 1
		.amdhsa_reserve_flat_scratch 0
		.amdhsa_float_round_mode_32 0
		.amdhsa_float_round_mode_16_64 0
		.amdhsa_float_denorm_mode_32 3
		.amdhsa_float_denorm_mode_16_64 3
		.amdhsa_dx10_clamp 1
		.amdhsa_ieee_mode 1
		.amdhsa_fp16_overflow 0
		.amdhsa_exception_fp_ieee_invalid_op 0
		.amdhsa_exception_fp_denorm_src 0
		.amdhsa_exception_fp_ieee_div_zero 0
		.amdhsa_exception_fp_ieee_overflow 0
		.amdhsa_exception_fp_ieee_underflow 0
		.amdhsa_exception_fp_ieee_inexact 0
		.amdhsa_exception_int_div_zero 0
	.end_amdhsa_kernel
	.text
.Lfunc_end0:
	.size	fft_rtc_back_len1690_factors_13_10_13_wgs_169_tpt_169_dp_op_CI_CI_unitstride_sbrr_R2C_dirReg, .Lfunc_end0-fft_rtc_back_len1690_factors_13_10_13_wgs_169_tpt_169_dp_op_CI_CI_unitstride_sbrr_R2C_dirReg
                                        ; -- End function
	.section	.AMDGPU.csdata,"",@progbits
; Kernel info:
; codeLenInByte = 13748
; NumSgprs: 52
; NumVgprs: 255
; ScratchSize: 20
; MemoryBound: 0
; FloatMode: 240
; IeeeMode: 1
; LDSByteSize: 0 bytes/workgroup (compile time only)
; SGPRBlocks: 6
; VGPRBlocks: 63
; NumSGPRsForWavesPerEU: 52
; NumVGPRsForWavesPerEU: 255
; Occupancy: 1
; WaveLimiterHint : 1
; COMPUTE_PGM_RSRC2:SCRATCH_EN: 1
; COMPUTE_PGM_RSRC2:USER_SGPR: 6
; COMPUTE_PGM_RSRC2:TRAP_HANDLER: 0
; COMPUTE_PGM_RSRC2:TGID_X_EN: 1
; COMPUTE_PGM_RSRC2:TGID_Y_EN: 0
; COMPUTE_PGM_RSRC2:TGID_Z_EN: 0
; COMPUTE_PGM_RSRC2:TIDIG_COMP_CNT: 0
	.type	__hip_cuid_a93faee6ede5abb0,@object ; @__hip_cuid_a93faee6ede5abb0
	.section	.bss,"aw",@nobits
	.globl	__hip_cuid_a93faee6ede5abb0
__hip_cuid_a93faee6ede5abb0:
	.byte	0                               ; 0x0
	.size	__hip_cuid_a93faee6ede5abb0, 1

	.ident	"AMD clang version 19.0.0git (https://github.com/RadeonOpenCompute/llvm-project roc-6.4.0 25133 c7fe45cf4b819c5991fe208aaa96edf142730f1d)"
	.section	".note.GNU-stack","",@progbits
	.addrsig
	.addrsig_sym __hip_cuid_a93faee6ede5abb0
	.amdgpu_metadata
---
amdhsa.kernels:
  - .args:
      - .actual_access:  read_only
        .address_space:  global
        .offset:         0
        .size:           8
        .value_kind:     global_buffer
      - .offset:         8
        .size:           8
        .value_kind:     by_value
      - .actual_access:  read_only
        .address_space:  global
        .offset:         16
        .size:           8
        .value_kind:     global_buffer
      - .actual_access:  read_only
        .address_space:  global
        .offset:         24
        .size:           8
        .value_kind:     global_buffer
      - .actual_access:  read_only
        .address_space:  global
        .offset:         32
        .size:           8
        .value_kind:     global_buffer
      - .offset:         40
        .size:           8
        .value_kind:     by_value
      - .actual_access:  read_only
        .address_space:  global
        .offset:         48
        .size:           8
        .value_kind:     global_buffer
      - .actual_access:  read_only
        .address_space:  global
        .offset:         56
        .size:           8
        .value_kind:     global_buffer
      - .offset:         64
        .size:           4
        .value_kind:     by_value
      - .actual_access:  read_only
        .address_space:  global
        .offset:         72
        .size:           8
        .value_kind:     global_buffer
      - .actual_access:  read_only
        .address_space:  global
        .offset:         80
        .size:           8
        .value_kind:     global_buffer
      - .actual_access:  read_only
        .address_space:  global
        .offset:         88
        .size:           8
        .value_kind:     global_buffer
      - .actual_access:  write_only
        .address_space:  global
        .offset:         96
        .size:           8
        .value_kind:     global_buffer
    .group_segment_fixed_size: 0
    .kernarg_segment_align: 8
    .kernarg_segment_size: 104
    .language:       OpenCL C
    .language_version:
      - 2
      - 0
    .max_flat_workgroup_size: 169
    .name:           fft_rtc_back_len1690_factors_13_10_13_wgs_169_tpt_169_dp_op_CI_CI_unitstride_sbrr_R2C_dirReg
    .private_segment_fixed_size: 20
    .sgpr_count:     52
    .sgpr_spill_count: 0
    .symbol:         fft_rtc_back_len1690_factors_13_10_13_wgs_169_tpt_169_dp_op_CI_CI_unitstride_sbrr_R2C_dirReg.kd
    .uniform_work_group_size: 1
    .uses_dynamic_stack: false
    .vgpr_count:     255
    .vgpr_spill_count: 4
    .wavefront_size: 64
amdhsa.target:   amdgcn-amd-amdhsa--gfx906
amdhsa.version:
  - 1
  - 2
...

	.end_amdgpu_metadata
